;; amdgpu-corpus repo=ROCm/rocFFT kind=compiled arch=gfx1100 opt=O3
	.text
	.amdgcn_target "amdgcn-amd-amdhsa--gfx1100"
	.amdhsa_code_object_version 6
	.protected	bluestein_single_back_len3840_dim1_sp_op_CI_CI ; -- Begin function bluestein_single_back_len3840_dim1_sp_op_CI_CI
	.globl	bluestein_single_back_len3840_dim1_sp_op_CI_CI
	.p2align	8
	.type	bluestein_single_back_len3840_dim1_sp_op_CI_CI,@function
bluestein_single_back_len3840_dim1_sp_op_CI_CI: ; @bluestein_single_back_len3840_dim1_sp_op_CI_CI
; %bb.0:
	s_mov_b32 s2, s15
	s_load_b128 s[12:15], s[0:1], 0x28
	v_mov_b32_e32 v198, v0
	s_mov_b32 s3, 0
	s_mov_b32 s5, exec_lo
	s_waitcnt lgkmcnt(0)
	v_cmpx_lt_u64_e64 s[2:3], s[12:13]
	s_cbranch_execz .LBB0_2
; %bb.1:
	s_clause 0x1
	s_load_b128 s[4:7], s[0:1], 0x18
	s_load_b128 s[8:11], s[0:1], 0x0
	v_dual_mov_b32 v2, s2 :: v_dual_mov_b32 v3, s3
	v_lshlrev_b32_e32 v149, 3, v198
	v_or_b32_e32 v84, 0x300, v198
	v_or_b32_e32 v49, 0x380, v198
	s_delay_alu instid0(VALU_DEP_4)
	v_mov_b32_e32 v6, v2
	v_or_b32_e32 v57, 0x680, v198
	v_or_b32_e32 v85, 0x200, v198
	;; [unrolled: 1-line block ×8, first 2 shown]
	s_load_b64 s[0:1], s[0:1], 0x38
	v_lshlrev_b32_e32 v72, 3, v85
	v_lshlrev_b32_e32 v62, 3, v86
	;; [unrolled: 1-line block ×3, first 2 shown]
	s_waitcnt lgkmcnt(0)
	s_load_b128 s[16:19], s[4:5], 0x0
	s_add_u32 s2, s8, 0x7800
	s_addc_u32 s3, s9, 0
	v_lshlrev_b32_e32 v75, 3, v58
	v_lshlrev_b32_e32 v63, 3, v170
	;; [unrolled: 1-line block ×4, first 2 shown]
	s_waitcnt lgkmcnt(0)
	v_mad_u64_u32 v[0:1], null, s18, v2, 0
	v_mad_u64_u32 v[2:3], null, s16, v198, 0
	s_mul_i32 s5, s17, 0xc00
	s_mul_hi_u32 s12, s16, 0xc00
	s_mul_i32 s4, s16, 0xc00
	s_add_i32 s5, s12, s5
	s_mul_i32 s12, s17, 0xffff9800
	s_delay_alu instid0(VALU_DEP_1) | instskip(SKIP_1) | instid1(VALU_DEP_1)
	v_mad_u64_u32 v[4:5], null, s19, v6, v[1:2]
	s_sub_i32 s12, s12, s16
	v_mov_b32_e32 v1, v4
	scratch_store_b64 off, v[6:7], off      ; 8-byte Folded Spill
	v_mad_u64_u32 v[5:6], null, s17, v198, v[3:4]
	v_lshlrev_b64 v[0:1], 3, v[0:1]
	s_delay_alu instid0(VALU_DEP_2) | instskip(NEXT) | instid1(VALU_DEP_2)
	v_mov_b32_e32 v3, v5
	v_add_co_u32 v0, vcc_lo, s14, v0
	s_delay_alu instid0(VALU_DEP_3) | instskip(NEXT) | instid1(VALU_DEP_3)
	v_add_co_ci_u32_e32 v1, vcc_lo, s15, v1, vcc_lo
	v_lshlrev_b64 v[2:3], 3, v[2:3]
	s_delay_alu instid0(VALU_DEP_1) | instskip(NEXT) | instid1(VALU_DEP_2)
	v_add_co_u32 v5, vcc_lo, v0, v2
	v_add_co_ci_u32_e32 v6, vcc_lo, v1, v3, vcc_lo
	v_or_b32_e32 v0, 0x600, v198
	s_delay_alu instid0(VALU_DEP_3) | instskip(NEXT) | instid1(VALU_DEP_3)
	v_add_co_u32 v7, vcc_lo, v5, s4
	v_add_co_ci_u32_e32 v8, vcc_lo, s5, v6, vcc_lo
	global_load_b64 v[5:6], v[5:6], off
	global_load_b64 v[52:53], v149, s[8:9]
	v_add_co_u32 v9, vcc_lo, v7, s4
	v_add_co_ci_u32_e32 v10, vcc_lo, s5, v8, vcc_lo
	v_lshlrev_b32_e32 v26, 3, v84
	s_delay_alu instid0(VALU_DEP_3) | instskip(NEXT) | instid1(VALU_DEP_3)
	v_add_co_u32 v11, vcc_lo, v9, s4
	v_add_co_ci_u32_e32 v12, vcc_lo, s5, v10, vcc_lo
	s_delay_alu instid0(VALU_DEP_2) | instskip(NEXT) | instid1(VALU_DEP_2)
	v_add_co_u32 v13, vcc_lo, v11, s4
	v_add_co_ci_u32_e32 v14, vcc_lo, s5, v12, vcc_lo
	s_delay_alu instid0(VALU_DEP_2) | instskip(NEXT) | instid1(VALU_DEP_2)
	;; [unrolled: 3-line block ×6, first 2 shown]
	v_add_co_u32 v1, vcc_lo, v19, s4
	v_add_co_ci_u32_e32 v2, vcc_lo, s5, v20, vcc_lo
	s_delay_alu instid0(VALU_DEP_1) | instskip(SKIP_1) | instid1(VALU_DEP_1)
	v_mad_u64_u32 v[21:22], null, 0xffff9800, s16, v[1:2]
	s_waitcnt vmcnt(0)
	v_dual_mul_f32 v33, v6, v53 :: v_dual_add_nc_u32 v22, s12, v22
	v_mul_f32_e32 v34, v5, v53
	global_load_b64 v[39:40], v149, s[8:9] offset:1024
	global_load_b64 v[23:24], v[21:22], off
	v_lshlrev_b32_e32 v25, 3, v49
	global_load_b64 v[50:51], v26, s[8:9]
	v_add_co_u32 v21, vcc_lo, v21, s4
	v_fma_f32 v34, v6, v52, -v34
	v_add_co_ci_u32_e32 v22, vcc_lo, s5, v22, vcc_lo
	global_load_b64 v[9:10], v[9:10], off
	v_or_b32_e32 v43, 0x4800, v149
	v_or_b32_e32 v54, 0x4c00, v149
	v_or_b32_e32 v61, 0x3c00, v149
	v_or_b32_e32 v71, 0x4000, v149
	v_or_b32_e32 v65, 0x4400, v149
	v_or_b32_e32 v74, 0x5400, v149
	v_or_b32_e32 v68, 0x5000, v149
	v_or_b32_e32 v76, 0x5800, v149
	v_or_b32_e32 v70, 0x5c00, v149
	v_or_b32_e32 v59, 0x6c00, v149
	v_or_b32_e32 v67, 0x6800, v149
	v_or_b32_e32 v73, 0x7000, v149
	v_or_b32_e32 v69, 0x7400, v149
	s_waitcnt vmcnt(2)
	v_mul_f32_e32 v6, v23, v40
	global_load_b64 v[45:46], v25, s[8:9]
	v_mul_f32_e32 v35, v24, v40
	v_lshlrev_b32_e32 v32, 3, v0
	v_lshlrev_b32_e32 v31, 3, v57
	v_fma_f32 v36, v24, v39, -v6
	s_delay_alu instid0(VALU_DEP_4)
	v_fmac_f32_e32 v35, v23, v39
	s_clause 0x1
	scratch_store_b32 off, v25, off offset:252
	scratch_store_b32 off, v32, off offset:256
	v_add_co_u32 v25, vcc_lo, v21, s4
	scratch_store_b32 off, v26, off offset:260 ; 4-byte Folded Spill
	v_add_co_ci_u32_e32 v26, vcc_lo, s5, v22, vcc_lo
	v_add_co_u32 v27, vcc_lo, v25, s4
	scratch_store_b32 off, v31, off offset:248 ; 4-byte Folded Spill
	v_add_co_ci_u32_e32 v28, vcc_lo, s5, v26, vcc_lo
	global_load_b64 v[25:26], v[25:26], off
	v_add_co_u32 v29, vcc_lo, v27, s4
	v_add_co_ci_u32_e32 v30, vcc_lo, s5, v28, vcc_lo
	s_clause 0x2
	global_load_b64 v[47:48], v32, s[8:9]
	global_load_b64 v[41:42], v31, s[8:9]
	global_load_b64 v[37:38], v149, s[8:9] offset:2048
	global_load_b64 v[13:14], v[13:14], off
	global_load_b64 v[31:32], v[29:30], off
	v_add_co_u32 v29, vcc_lo, v29, s4
	v_add_co_ci_u32_e32 v30, vcc_lo, s5, v30, vcc_lo
	s_clause 0x1
	scratch_store_b64 off, v[52:53], off offset:240
	scratch_store_b64 off, v[39:40], off offset:224
	v_fmac_f32_e32 v33, v5, v52
	v_add_co_u32 v5, vcc_lo, v29, s4
	global_load_b64 v[43:44], v43, s[8:9]
	global_load_b64 v[17:18], v[17:18], off
	v_add_co_ci_u32_e32 v6, vcc_lo, s5, v30, vcc_lo
	global_load_b64 v[39:40], v54, s[8:9]
	ds_store_2addr_stride64_b64 v149, v[33:34], v[35:36] offset1:2
	global_load_b64 v[23:24], v[5:6], off
	global_load_b64 v[7:8], v[7:8], off
	s_waitcnt vmcnt(12)
	v_mul_f32_e32 v34, v9, v51
	v_mul_f32_e32 v33, v10, v51
	v_add_co_u32 v5, vcc_lo, v5, s4
	v_or_b32_e32 v35, 0x6000, v149
	s_delay_alu instid0(VALU_DEP_4) | instskip(NEXT) | instid1(VALU_DEP_4)
	v_fma_f32 v34, v10, v50, -v34
	v_fmac_f32_e32 v33, v9, v50
	v_add_co_ci_u32_e32 v6, vcc_lo, s5, v6, vcc_lo
	scratch_store_b64 off, v[50:51], off offset:232 ; 8-byte Folded Spill
	s_waitcnt vmcnt(11)
	scratch_store_b64 off, v[45:46], off offset:216 ; 8-byte Folded Spill
	s_waitcnt vmcnt(10)
	v_mul_f32_e32 v10, v25, v46
	s_waitcnt vmcnt(9)
	scratch_store_b64 off, v[47:48], off offset:208 ; 8-byte Folded Spill
	s_waitcnt vmcnt(8)
	scratch_store_b64 off, v[41:42], off offset:200 ; 8-byte Folded Spill
	v_mul_f32_e32 v9, v26, v46
	v_fma_f32 v10, v26, v45, -v10
	s_waitcnt vmcnt(6)
	v_mul_f32_e32 v26, v13, v48
	s_delay_alu instid0(VALU_DEP_3) | instskip(SKIP_1) | instid1(VALU_DEP_3)
	v_fmac_f32_e32 v9, v25, v45
	v_mul_f32_e32 v25, v14, v48
	v_fma_f32 v26, v14, v47, -v26
	s_waitcnt vmcnt(5)
	v_mul_f32_e32 v14, v31, v42
	ds_store_2addr_stride64_b64 v149, v[33:34], v[9:10] offset0:12 offset1:14
	v_mul_f32_e32 v9, v32, v42
	v_fmac_f32_e32 v25, v13, v47
	s_waitcnt vmcnt(3)
	v_mul_f32_e32 v33, v17, v44
	v_mul_f32_e32 v13, v18, v44
	v_fma_f32 v10, v32, v41, -v14
	v_or_b32_e32 v32, 0x6400, v149
	v_fmac_f32_e32 v9, v31, v41
	scratch_store_b64 off, v[43:44], off offset:184 ; 8-byte Folded Spill
	global_load_b64 v[34:35], v35, s[8:9]
	v_fma_f32 v14, v18, v43, -v33
	v_fmac_f32_e32 v13, v17, v43
	global_load_b64 v[31:32], v32, s[8:9]
	global_load_b64 v[17:18], v[19:20], off
	ds_store_2addr_stride64_b64 v149, v[25:26], v[9:10] offset0:24 offset1:26
	s_waitcnt vmcnt(4)
	v_mul_f32_e32 v9, v24, v40
	v_add_co_u32 v19, vcc_lo, v5, s4
	v_mul_f32_e32 v10, v23, v40
	v_add_co_ci_u32_e32 v20, vcc_lo, s5, v6, vcc_lo
	s_delay_alu instid0(VALU_DEP_4) | instskip(NEXT) | instid1(VALU_DEP_4)
	v_fmac_f32_e32 v9, v23, v39
	v_add_co_u32 v23, vcc_lo, v19, s4
	s_delay_alu instid0(VALU_DEP_4) | instskip(NEXT) | instid1(VALU_DEP_4)
	v_fma_f32 v10, v24, v39, -v10
	v_add_co_ci_u32_e32 v24, vcc_lo, s5, v20, vcc_lo
	global_load_b64 v[19:20], v[19:20], off
	global_load_b64 v[5:6], v[5:6], off
	ds_store_2addr_stride64_b64 v149, v[13:14], v[9:10] offset0:36 offset1:38
	v_mad_u64_u32 v[13:14], null, 0xffff9800, s16, v[23:24]
	global_load_b64 v[3:4], v[3:4], off
	global_load_b64 v[1:2], v[1:2], off
	s_waitcnt vmcnt(4)
	v_dual_mul_f32 v25, v17, v35 :: v_dual_add_nc_u32 v14, s12, v14
	v_mul_f32_e32 v9, v18, v35
	s_delay_alu instid0(VALU_DEP_2) | instskip(SKIP_1) | instid1(VALU_DEP_2)
	v_fma_f32 v10, v18, v34, -v25
	s_waitcnt vmcnt(3)
	v_dual_fmac_f32 v9, v17, v34 :: v_dual_mul_f32 v18, v19, v32
	v_mul_f32_e32 v17, v20, v32
	s_delay_alu instid0(VALU_DEP_2) | instskip(NEXT) | instid1(VALU_DEP_2)
	v_fma_f32 v18, v20, v31, -v18
	v_fmac_f32_e32 v17, v19, v31
	global_load_b64 v[19:20], v149, s[8:9] offset:3072
	ds_store_2addr_stride64_b64 v149, v[9:10], v[17:18] offset0:48 offset1:50
	global_load_b64 v[9:10], v[13:14], off
	s_waitcnt vmcnt(1)
	v_mul_f32_e32 v18, v7, v20
	v_mul_f32_e32 v17, v8, v20
	scratch_store_b64 off, v[19:20], off offset:160 ; 8-byte Folded Spill
	v_fma_f32 v18, v8, v19, -v18
	s_waitcnt vmcnt(0)
	v_dual_mul_f32 v8, v9, v38 :: v_dual_fmac_f32 v17, v7, v19
	v_mul_f32_e32 v7, v10, v38
	s_delay_alu instid0(VALU_DEP_2) | instskip(NEXT) | instid1(VALU_DEP_2)
	v_fma_f32 v8, v10, v37, -v8
	v_fmac_f32_e32 v7, v9, v37
	v_add_co_u32 v9, vcc_lo, v13, s4
	v_add_co_ci_u32_e32 v10, vcc_lo, s5, v14, vcc_lo
	ds_store_2addr_stride64_b64 v149, v[7:8], v[17:18] offset0:4 offset1:6
	global_load_b64 v[18:19], v72, s[8:9]
	global_load_b64 v[7:8], v[21:22], off
	scratch_store_b64 off, v[34:35], off offset:176 ; 8-byte Folded Spill
	s_waitcnt vmcnt(1)
	scratch_store_b64 off, v[18:19], off offset:96 ; 8-byte Folded Spill
	s_waitcnt vmcnt(0)
	v_mul_f32_e32 v17, v7, v19
	v_mul_f32_e32 v13, v8, v19
	global_load_b64 v[19:20], v62, s[8:9]
	v_fma_f32 v14, v8, v18, -v17
	v_fmac_f32_e32 v13, v7, v18
	global_load_b64 v[7:8], v[9:10], off
	s_waitcnt vmcnt(0)
	v_mul_f32_e32 v17, v7, v20
	s_delay_alu instid0(VALU_DEP_1) | instskip(SKIP_1) | instid1(VALU_DEP_1)
	v_fma_f32 v18, v8, v19, -v17
	v_mul_f32_e32 v17, v8, v20
	v_fmac_f32_e32 v17, v7, v19
	v_add_co_u32 v7, vcc_lo, v9, s4
	v_add_co_ci_u32_e32 v8, vcc_lo, s5, v10, vcc_lo
	ds_store_2addr_stride64_b64 v149, v[13:14], v[17:18] offset0:8 offset1:10
	global_load_b64 v[9:10], v[11:12], off
	s_clause 0x1
	global_load_b64 v[12:13], v75, s[8:9]
	global_load_b64 v[17:18], v64, s[8:9]
	s_waitcnt vmcnt(1)
	v_mul_f32_e32 v11, v9, v13
	scratch_store_b64 off, v[12:13], off offset:136 ; 8-byte Folded Spill
	s_waitcnt vmcnt(0)
	scratch_store_b64 off, v[17:18], off offset:144 ; 8-byte Folded Spill
	v_fma_f32 v11, v10, v12, -v11
	v_mul_f32_e32 v10, v10, v13
	s_delay_alu instid0(VALU_DEP_1)
	v_fmac_f32_e32 v10, v9, v12
	global_load_b64 v[12:13], v[7:8], off
	v_add_co_u32 v7, vcc_lo, v7, s4
	v_add_co_ci_u32_e32 v8, vcc_lo, s5, v8, vcc_lo
	s_waitcnt vmcnt(0)
	v_mul_f32_e32 v9, v12, v18
	s_delay_alu instid0(VALU_DEP_1) | instskip(SKIP_1) | instid1(VALU_DEP_1)
	v_fma_f32 v14, v13, v17, -v9
	v_mul_f32_e32 v13, v13, v18
	v_fmac_f32_e32 v13, v12, v17
	global_load_b64 v[17:18], v66, s[8:9]
	ds_store_2addr_stride64_b64 v149, v[13:14], v[10:11] offset0:16 offset1:18
	global_load_b64 v[9:10], v[27:28], off
	global_load_b64 v[12:13], v60, s[8:9]
	scratch_store_b64 off, v[19:20], off offset:120 ; 8-byte Folded Spill
	s_waitcnt vmcnt(0)
	v_mul_f32_e32 v11, v9, v13
	scratch_store_b64 off, v[12:13], off offset:56 ; 8-byte Folded Spill
	v_fma_f32 v11, v10, v12, -v11
	v_mul_f32_e32 v10, v10, v13
	s_delay_alu instid0(VALU_DEP_1)
	v_fmac_f32_e32 v10, v9, v12
	global_load_b64 v[12:13], v[7:8], off
	v_add_co_u32 v7, vcc_lo, v7, s4
	v_add_co_ci_u32_e32 v8, vcc_lo, s5, v8, vcc_lo
	s_waitcnt vmcnt(0)
	v_mul_f32_e32 v9, v12, v18
	s_delay_alu instid0(VALU_DEP_1) | instskip(SKIP_1) | instid1(VALU_DEP_1)
	v_fma_f32 v14, v13, v17, -v9
	v_mul_f32_e32 v13, v13, v18
	v_fmac_f32_e32 v13, v12, v17
	ds_store_2addr_stride64_b64 v149, v[10:11], v[13:14] offset0:20 offset1:22
	global_load_b64 v[9:10], v[15:16], off
	s_clause 0x1
	global_load_b64 v[12:13], v61, s[8:9]
	global_load_b64 v[15:16], v63, s[8:9]
	s_waitcnt vmcnt(1)
	v_mul_f32_e32 v11, v9, v13
	scratch_store_b64 off, v[12:13], off offset:88 ; 8-byte Folded Spill
	v_fma_f32 v11, v10, v12, -v11
	v_mul_f32_e32 v10, v10, v13
	s_delay_alu instid0(VALU_DEP_1)
	v_fmac_f32_e32 v10, v9, v12
	global_load_b64 v[12:13], v[7:8], off
	v_add_co_u32 v7, vcc_lo, v7, s4
	v_add_co_ci_u32_e32 v8, vcc_lo, s5, v8, vcc_lo
	s_waitcnt vmcnt(0)
	v_mul_f32_e32 v9, v12, v16
	s_delay_alu instid0(VALU_DEP_1) | instskip(SKIP_1) | instid1(VALU_DEP_1)
	v_fma_f32 v14, v13, v15, -v9
	v_mul_f32_e32 v13, v13, v16
	v_fmac_f32_e32 v13, v12, v15
	ds_store_2addr_stride64_b64 v149, v[13:14], v[10:11] offset0:28 offset1:30
	global_load_b64 v[9:10], v[29:30], off
	global_load_b64 v[12:13], v71, s[8:9]
	scratch_store_b64 off, v[15:16], off offset:112 ; 8-byte Folded Spill
	global_load_b64 v[15:16], v65, s[8:9]
	s_waitcnt vmcnt(1)
	scratch_store_b64 off, v[12:13], off offset:128 ; 8-byte Folded Spill
	v_mul_f32_e32 v11, v9, v13
	s_delay_alu instid0(VALU_DEP_1) | instskip(SKIP_1) | instid1(VALU_DEP_1)
	v_fma_f32 v11, v10, v12, -v11
	v_mul_f32_e32 v10, v10, v13
	v_fmac_f32_e32 v10, v9, v12
	global_load_b64 v[12:13], v[7:8], off
	v_add_co_u32 v7, vcc_lo, v7, s4
	v_add_co_ci_u32_e32 v8, vcc_lo, s5, v8, vcc_lo
	s_waitcnt vmcnt(0)
	v_mul_f32_e32 v9, v12, v16
	s_delay_alu instid0(VALU_DEP_1) | instskip(SKIP_1) | instid1(VALU_DEP_1)
	v_fma_f32 v14, v13, v15, -v9
	v_mul_f32_e32 v13, v13, v16
	v_fmac_f32_e32 v13, v12, v15
	ds_store_2addr_stride64_b64 v149, v[10:11], v[13:14] offset0:32 offset1:34
	s_clause 0x1
	global_load_b64 v[11:12], v74, s[8:9]
	global_load_b64 v[13:14], v68, s[8:9]
	s_clause 0x1
	scratch_store_b64 off, v[39:40], off offset:192
	scratch_store_b64 off, v[15:16], off offset:104
	s_waitcnt vmcnt(1)
	scratch_store_b64 off, v[11:12], off offset:40 ; 8-byte Folded Spill
	v_mul_f32_e32 v9, v3, v12
	s_delay_alu instid0(VALU_DEP_1) | instskip(SKIP_1) | instid1(VALU_DEP_1)
	v_fma_f32 v10, v4, v11, -v9
	v_mul_f32_e32 v9, v4, v12
	v_fmac_f32_e32 v9, v3, v11
	global_load_b64 v[3:4], v[7:8], off
	s_waitcnt vmcnt(0)
	v_mul_f32_e32 v11, v3, v14
	s_delay_alu instid0(VALU_DEP_1) | instskip(SKIP_1) | instid1(VALU_DEP_1)
	v_fma_f32 v12, v4, v13, -v11
	v_mul_f32_e32 v11, v4, v14
	v_fmac_f32_e32 v11, v3, v13
	v_add_co_u32 v3, vcc_lo, v7, s4
	v_add_co_ci_u32_e32 v4, vcc_lo, s5, v8, vcc_lo
	ds_store_2addr_stride64_b64 v149, v[11:12], v[9:10] offset0:40 offset1:42
	global_load_b64 v[8:9], v76, s[8:9]
	scratch_store_b64 off, v[37:38], off offset:152 ; 8-byte Folded Spill
	global_load_b64 v[11:12], v70, s[8:9]
	s_waitcnt vmcnt(1)
	scratch_store_b64 off, v[8:9], off offset:72 ; 8-byte Folded Spill
	v_mul_f32_e32 v7, v5, v9
	s_waitcnt vmcnt(0)
	scratch_store_b64 off, v[11:12], off offset:80 ; 8-byte Folded Spill
	v_fma_f32 v7, v6, v8, -v7
	v_mul_f32_e32 v6, v6, v9
	s_delay_alu instid0(VALU_DEP_1)
	v_fmac_f32_e32 v6, v5, v8
	global_load_b64 v[8:9], v[3:4], off
	v_add_co_u32 v3, vcc_lo, v3, s4
	v_add_co_ci_u32_e32 v4, vcc_lo, s5, v4, vcc_lo
	s_waitcnt vmcnt(0)
	v_mul_f32_e32 v5, v8, v12
	s_delay_alu instid0(VALU_DEP_1) | instskip(SKIP_1) | instid1(VALU_DEP_1)
	v_fma_f32 v10, v9, v11, -v5
	v_mul_f32_e32 v9, v9, v12
	v_fmac_f32_e32 v9, v8, v11
	ds_store_2addr_stride64_b64 v149, v[6:7], v[9:10] offset0:44 offset1:46
	s_clause 0x1
	global_load_b64 v[7:8], v59, s[8:9]
	global_load_b64 v[9:10], v67, s[8:9]
	s_waitcnt vmcnt(1)
	v_mul_f32_e32 v5, v1, v8
	scratch_store_b64 off, v[7:8], off offset:8 ; 8-byte Folded Spill
	v_fma_f32 v6, v2, v7, -v5
	v_mul_f32_e32 v5, v2, v8
	s_delay_alu instid0(VALU_DEP_1) | instskip(SKIP_3) | instid1(VALU_DEP_1)
	v_fmac_f32_e32 v5, v1, v7
	global_load_b64 v[1:2], v[3:4], off
	s_waitcnt vmcnt(0)
	v_mul_f32_e32 v7, v1, v10
	v_fma_f32 v8, v2, v9, -v7
	v_mul_f32_e32 v7, v2, v10
	s_delay_alu instid0(VALU_DEP_1)
	v_fmac_f32_e32 v7, v1, v9
	v_add_co_u32 v1, vcc_lo, v3, s4
	v_add_co_ci_u32_e32 v2, vcc_lo, s5, v4, vcc_lo
	ds_store_2addr_stride64_b64 v149, v[7:8], v[5:6] offset0:52 offset1:54
	global_load_b64 v[3:4], v[23:24], off
	global_load_b64 v[6:7], v73, s[8:9]
	s_clause 0x1
	scratch_store_b64 off, v[9:10], off offset:16
	scratch_store_b64 off, v[13:14], off offset:48
	global_load_b64 v[1:2], v[1:2], off
	s_load_b128 s[4:7], s[6:7], 0x0
	v_cmp_gt_u32_e32 vcc_lo, 0x78, v198
	s_waitcnt vmcnt(1)
	scratch_store_b64 off, v[6:7], off offset:24 ; 8-byte Folded Spill
	v_mul_f32_e32 v5, v3, v7
	s_delay_alu instid0(VALU_DEP_1) | instskip(SKIP_1) | instid1(VALU_DEP_1)
	v_fma_f32 v5, v4, v6, -v5
	v_mul_f32_e32 v4, v4, v7
	v_fmac_f32_e32 v4, v3, v6
	global_load_b64 v[6:7], v69, s[8:9]
	s_clause 0x1
	scratch_store_b64 off, v[17:18], off offset:64
	scratch_store_b64 off, v[31:32], off offset:168
	s_waitcnt vmcnt(0)
	v_mul_f32_e32 v3, v1, v7
	scratch_store_b64 off, v[6:7], off offset:32 ; 8-byte Folded Spill
	v_fma_f32 v3, v2, v6, -v3
	v_mul_f32_e32 v2, v2, v7
	s_delay_alu instid0(VALU_DEP_1)
	v_fmac_f32_e32 v2, v1, v6
	ds_store_2addr_stride64_b64 v149, v[4:5], v[2:3] offset0:56 offset1:58
	s_waitcnt lgkmcnt(0)
	s_waitcnt_vscnt null, 0x0
	s_barrier
	buffer_gl0_inv
	ds_load_2addr_stride64_b64 v[1:4], v149 offset1:2
	ds_load_2addr_stride64_b64 v[5:8], v149 offset0:12 offset1:14
	ds_load_2addr_stride64_b64 v[9:12], v149 offset0:24 offset1:26
	;; [unrolled: 1-line block ×3, first 2 shown]
	s_waitcnt lgkmcnt(2)
	v_add_f32_e32 v13, v1, v5
	s_waitcnt lgkmcnt(1)
	v_sub_f32_e32 v116, v5, v9
	s_waitcnt lgkmcnt(0)
	v_dual_add_f32 v37, v9, v39 :: v_dual_sub_f32 v28, v10, v40
	v_sub_f32_e32 v44, v9, v5
	v_add_f32_e32 v23, v13, v9
	v_add_f32_e32 v13, v2, v6
	v_dual_add_f32 v38, v10, v40 :: v_dual_sub_f32 v29, v9, v39
	v_sub_f32_e32 v119, v6, v10
	v_sub_f32_e32 v46, v10, v6
	s_delay_alu instid0(VALU_DEP_4) | instskip(SKIP_3) | instid1(VALU_DEP_4)
	v_dual_add_f32 v24, v13, v10 :: v_dual_add_f32 v13, v3, v7
	v_add_f32_e32 v17, v11, v41
	v_sub_f32_e32 v25, v7, v11
	v_dual_sub_f32 v18, v11, v7 :: v_dual_add_f32 v19, v12, v42
	v_dual_add_f32 v26, v13, v11 :: v_dual_add_f32 v13, v4, v8
	v_dual_sub_f32 v14, v11, v41 :: v_dual_sub_f32 v27, v8, v12
	v_sub_f32_e32 v20, v12, v8
	s_delay_alu instid0(VALU_DEP_3)
	v_dual_add_f32 v30, v13, v12 :: v_dual_sub_f32 v13, v12, v42
	ds_load_2addr_stride64_b64 v[9:12], v149 offset0:48 offset1:50
	s_waitcnt lgkmcnt(0)
	v_sub_f32_e32 v32, v6, v10
	v_add_f32_e32 v52, v5, v9
	v_dual_sub_f32 v33, v5, v9 :: v_dual_add_f32 v50, v6, v10
	v_sub_f32_e32 v15, v8, v12
	v_add_f32_e32 v21, v7, v11
	v_sub_f32_e32 v16, v7, v11
	v_dual_add_f32 v22, v8, v12 :: v_dual_add_f32 v5, v23, v39
	v_dual_add_f32 v6, v24, v40 :: v_dual_add_f32 v7, v26, v41
	v_add_f32_e32 v8, v30, v42
	v_dual_sub_f32 v128, v9, v39 :: v_dual_sub_f32 v95, v39, v9
	v_dual_sub_f32 v129, v10, v40 :: v_dual_sub_f32 v96, v40, v10
	v_sub_f32_e32 v35, v11, v41
	v_dual_sub_f32 v31, v41, v11 :: v_dual_sub_f32 v36, v12, v42
	v_dual_sub_f32 v30, v42, v12 :: v_dual_add_f32 v45, v5, v9
	v_dual_add_f32 v48, v6, v10 :: v_dual_add_f32 v23, v7, v11
	v_add_f32_e32 v26, v8, v12
	ds_load_2addr_stride64_b64 v[5:8], v149 offset0:4 offset1:6
	ds_load_2addr_stride64_b64 v[9:12], v149 offset0:16 offset1:18
	ds_load_2addr_stride64_b64 v[105:108], v149 offset0:52 offset1:54
	ds_load_2addr_stride64_b64 v[109:112], v149 offset0:28 offset1:30
	v_fma_f32 v52, -0.5, v52, v1
	v_fma_f32 v50, -0.5, v50, v2
	v_add_f32_e32 v46, v46, v96
	v_add_f32_e32 v116, v116, v128
	v_fma_f32 v2, -0.5, v38, v2
	s_waitcnt lgkmcnt(1)
	v_dual_add_f32 v40, v7, v11 :: v_dual_sub_f32 v47, v12, v108
	s_waitcnt lgkmcnt(0)
	v_sub_f32_e32 v54, v11, v111
	v_add_f32_e32 v101, v11, v107
	v_dual_sub_f32 v103, v111, v11 :: v_dual_add_f32 v42, v8, v12
	v_sub_f32_e32 v51, v11, v107
	v_sub_f32_e32 v55, v12, v112
	v_add_f32_e32 v100, v12, v108
	v_dual_sub_f32 v104, v112, v12 :: v_dual_add_f32 v11, v5, v9
	v_add_f32_e32 v12, v6, v10
	v_dual_sub_f32 v24, v10, v106 :: v_dual_sub_f32 v41, v9, v109
	v_add_f32_e32 v39, v9, v105
	v_sub_f32_e32 v43, v109, v9
	v_dual_sub_f32 v34, v9, v105 :: v_dual_add_f32 v89, v10, v106
	v_sub_f32_e32 v91, v10, v110
	v_dual_sub_f32 v90, v110, v10 :: v_dual_add_f32 v77, v11, v109
	v_add_f32_e32 v78, v12, v110
	ds_load_2addr_stride64_b64 v[9:12], v149 offset0:40 offset1:42
	v_dual_add_f32 v53, v40, v111 :: v_dual_add_f32 v56, v42, v112
	s_waitcnt lgkmcnt(0)
	v_dual_add_f32 v79, v111, v11 :: v_dual_sub_f32 v132, v112, v12
	v_add_f32_e32 v80, v112, v12
	v_add_f32_e32 v88, v109, v9
	v_sub_f32_e32 v40, v110, v10
	v_add_f32_e32 v92, v110, v10
	v_sub_f32_e32 v42, v109, v9
	v_dual_add_f32 v53, v53, v11 :: v_dual_add_f32 v56, v56, v12
	v_dual_add_f32 v77, v77, v9 :: v_dual_add_f32 v78, v78, v10
	v_sub_f32_e32 v150, v107, v11
	v_dual_sub_f32 v131, v111, v11 :: v_dual_sub_f32 v152, v108, v12
	v_sub_f32_e32 v98, v105, v9
	v_sub_f32_e32 v97, v9, v105
	;; [unrolled: 1-line block ×3, first 2 shown]
	v_dual_sub_f32 v94, v10, v106 :: v_dual_sub_f32 v153, v12, v108
	v_sub_f32_e32 v151, v11, v107
	ds_load_2addr_stride64_b64 v[9:12], v149 offset0:8 offset1:10
	ds_load_2addr_stride64_b64 v[120:123], v149 offset0:20 offset1:22
	;; [unrolled: 1-line block ×4, first 2 shown]
	v_add_f32_e32 v96, v104, v153
	ds_load_2addr_stride64_b64 v[145:148], v149 offset0:44 offset1:46
	v_add_f32_e32 v154, v53, v107
	v_dual_add_f32 v56, v56, v108 :: v_dual_add_f32 v53, v77, v105
	v_add_f32_e32 v87, v78, v106
	v_fma_f32 v1, -0.5, v37, v1
	v_add_f32_e32 v54, v54, v150
	s_waitcnt lgkmcnt(0)
	s_barrier
	buffer_gl0_inv
	v_add_f32_e32 v106, v12, v123
	v_add_f32_e32 v127, v120, v137
	v_dual_sub_f32 v133, v120, v141 :: v_dual_sub_f32 v130, v141, v120
	v_sub_f32_e32 v112, v120, v137
	v_dual_add_f32 v108, v122, v139 :: v_dual_add_f32 v77, v9, v120
	v_sub_f32_e32 v102, v122, v139
	v_add_f32_e32 v120, v144, v148
	v_add_f32_e32 v44, v44, v95
	;; [unrolled: 1-line block ×3, first 2 shown]
	v_fmamk_f32 v103, v28, 0xbf737871, v52
	v_fmac_f32_e32 v52, 0x3f737871, v28
	v_add_f32_e32 v78, v10, v121
	v_add_f32_e32 v114, v106, v144
	v_sub_f32_e32 v106, v144, v148
	v_fmac_f32_e32 v103, 0x3f167918, v32
	v_fmac_f32_e32 v52, 0xbf167918, v32
	v_add_f32_e32 v78, v78, v142
	v_add_f32_e32 v114, v114, v148
	s_delay_alu instid0(VALU_DEP_4) | instskip(NEXT) | instid1(VALU_DEP_4)
	v_dual_sub_f32 v134, v141, v145 :: v_dual_fmac_f32 v103, 0x3e9e377a, v44
	v_fmac_f32_e32 v52, 0x3e9e377a, v44
	v_fmamk_f32 v44, v29, 0x3f737871, v50
	v_dual_fmac_f32 v50, 0xbf737871, v29 :: v_dual_sub_f32 v111, v121, v138
	v_add_f32_e32 v78, v78, v146
	v_add_f32_e32 v114, v114, v140
	s_delay_alu instid0(VALU_DEP_4) | instskip(NEXT) | instid1(VALU_DEP_4)
	v_fmac_f32_e32 v44, 0xbf167918, v33
	v_fmac_f32_e32 v50, 0x3f167918, v33
	v_sub_f32_e32 v136, v121, v142
	v_sub_f32_e32 v126, v142, v121
	v_fmamk_f32 v38, v33, 0xbf737871, v2
	v_fmac_f32_e32 v44, 0x3e9e377a, v46
	v_fmac_f32_e32 v50, 0x3e9e377a, v46
	v_fma_f32 v46, -0.5, v101, v7
	v_fma_f32 v7, -0.5, v79, v7
	v_fmac_f32_e32 v2, 0x3f737871, v33
	v_add_f32_e32 v156, v142, v146
	s_delay_alu instid0(VALU_DEP_4) | instskip(SKIP_3) | instid1(VALU_DEP_4)
	v_dual_sub_f32 v158, v146, v138 :: v_dual_fmamk_f32 v101, v132, 0xbf737871, v46
	v_dual_fmac_f32 v46, 0x3f737871, v132 :: v_dual_add_f32 v125, v121, v138
	v_fmamk_f32 v79, v47, 0x3f737871, v7
	v_sub_f32_e32 v121, v139, v147
	v_fmac_f32_e32 v101, 0x3f167918, v47
	s_delay_alu instid0(VALU_DEP_4) | instskip(SKIP_2) | instid1(VALU_DEP_4)
	v_dual_fmac_f32 v46, 0xbf167918, v47 :: v_dual_add_f32 v105, v11, v122
	v_add_f32_e32 v78, v78, v138
	v_fmac_f32_e32 v2, 0x3f167918, v29
	v_fmac_f32_e32 v101, 0x3e9e377a, v95
	s_delay_alu instid0(VALU_DEP_4) | instskip(SKIP_4) | instid1(VALU_DEP_4)
	v_fmac_f32_e32 v46, 0x3e9e377a, v95
	v_fma_f32 v95, -0.5, v100, v8
	v_fma_f32 v8, -0.5, v80, v8
	v_fmamk_f32 v37, v32, 0x3f737871, v1
	v_fmac_f32_e32 v1, 0xbf737871, v32
	v_dual_sub_f32 v107, v122, v143 :: v_dual_fmamk_f32 v100, v131, 0x3f737871, v95
	s_delay_alu instid0(VALU_DEP_4) | instskip(NEXT) | instid1(VALU_DEP_3)
	v_dual_sub_f32 v117, v144, v123 :: v_dual_fmamk_f32 v80, v51, 0xbf737871, v8
	v_dual_fmac_f32 v1, 0xbf167918, v28 :: v_dual_add_f32 v110, v105, v143
	v_fmac_f32_e32 v8, 0x3f737871, v51
	v_fmac_f32_e32 v79, 0x3f167918, v132
	v_dual_sub_f32 v93, v123, v140 :: v_dual_fmac_f32 v100, 0xbf167918, v51
	s_delay_alu instid0(VALU_DEP_4) | instskip(SKIP_3) | instid1(VALU_DEP_3)
	v_fmac_f32_e32 v1, 0x3e9e377a, v116
	v_fmac_f32_e32 v95, 0xbf737871, v131
	v_dual_add_f32 v115, v123, v140 :: v_dual_fmac_f32 v80, 0xbf167918, v131
	v_dual_add_f32 v110, v110, v147 :: v_dual_add_f32 v55, v55, v152
	v_fmac_f32_e32 v95, 0x3f167918, v51
	v_fmac_f32_e32 v8, 0x3f167918, v131
	;; [unrolled: 1-line block ×3, first 2 shown]
	v_dual_sub_f32 v109, v143, v122 :: v_dual_fmac_f32 v100, 0x3e9e377a, v96
	v_dual_sub_f32 v113, v123, v144 :: v_dual_fmac_f32 v80, 0x3e9e377a, v55
	v_add_f32_e32 v77, v77, v141
	v_sub_f32_e32 v135, v142, v146
	v_dual_sub_f32 v146, v138, v146 :: v_dual_add_f32 v119, v119, v129
	v_add_f32_e32 v138, v48, v56
	v_fmac_f32_e32 v95, 0x3e9e377a, v96
	v_mul_f32_e32 v96, 0x3f4f1bbd, v79
	v_mul_f32_e32 v79, 0xbf167918, v79
	v_add_f32_e32 v155, v141, v145
	v_dual_sub_f32 v123, v148, v140 :: v_dual_fmac_f32 v38, 0xbf167918, v29
	s_delay_alu instid0(VALU_DEP_4) | instskip(NEXT) | instid1(VALU_DEP_4)
	v_fmac_f32_e32 v96, 0x3f167918, v80
	v_fmac_f32_e32 v79, 0x3f4f1bbd, v80
	v_dual_mul_f32 v80, 0x3f737871, v100 :: v_dual_sub_f32 v105, v143, v147
	v_fmac_f32_e32 v7, 0xbf737871, v47
	v_fma_f32 v29, -0.5, v156, v10
	v_add_f32_e32 v77, v77, v145
	s_delay_alu instid0(VALU_DEP_4) | instskip(SKIP_4) | instid1(VALU_DEP_4)
	v_fmac_f32_e32 v80, 0x3e9e377a, v101
	v_mul_f32_e32 v101, 0xbf737871, v101
	v_fmac_f32_e32 v7, 0xbf167918, v132
	v_fmac_f32_e32 v38, 0x3e9e377a, v119
	;; [unrolled: 1-line block ×3, first 2 shown]
	v_dual_add_f32 v118, v143, v147 :: v_dual_fmac_f32 v101, 0x3e9e377a, v100
	v_dual_mul_f32 v100, 0xbe9e377a, v46 :: v_dual_sub_f32 v157, v137, v145
	v_sub_f32_e32 v145, v145, v137
	v_dual_fmac_f32 v7, 0x3e9e377a, v54 :: v_dual_sub_f32 v122, v140, v148
	s_delay_alu instid0(VALU_DEP_3) | instskip(SKIP_4) | instid1(VALU_DEP_4)
	v_fmac_f32_e32 v100, 0x3f737871, v95
	v_mul_f32_e32 v95, 0xbe9e377a, v95
	v_dual_fmac_f32 v37, 0x3f167918, v28 :: v_dual_add_f32 v140, v38, v79
	v_fmac_f32_e32 v8, 0x3e9e377a, v55
	v_mul_f32_e32 v28, 0xbf4f1bbd, v7
	v_fmac_f32_e32 v95, 0xbf737871, v46
	v_mul_u32_u24_e32 v46, 10, v198
	v_add_f32_e32 v77, v77, v137
	v_add_f32_e32 v137, v45, v154
	v_dual_fmac_f32 v37, 0x3e9e377a, v116 :: v_dual_sub_f32 v124, v147, v139
	s_delay_alu instid0(VALU_DEP_4) | instskip(SKIP_2) | instid1(VALU_DEP_4)
	v_lshlrev_b32_e32 v46, 3, v46
	v_fmac_f32_e32 v28, 0x3f167918, v8
	v_mul_f32_e32 v8, 0xbf4f1bbd, v8
	v_dual_add_f32 v110, v110, v139 :: v_dual_add_f32 v139, v37, v96
	v_dual_add_f32 v141, v103, v80 :: v_dual_add_f32 v142, v44, v101
	s_delay_alu instid0(VALU_DEP_3)
	v_fmac_f32_e32 v8, 0xbf167918, v7
	v_add_f32_e32 v144, v50, v95
	v_fma_f32 v21, -0.5, v21, v3
	v_add_f32_e32 v143, v52, v100
	ds_store_b128 v46, v[137:140]
	ds_store_b128 v46, v[141:144] offset:16
	v_add_f32_e32 v138, v2, v8
	v_dual_sub_f32 v47, v2, v8 :: v_dual_fmamk_f32 v8, v112, 0xbf737871, v29
	v_dual_add_f32 v2, v27, v36 :: v_dual_add_f32 v27, v136, v146
	v_dual_sub_f32 v140, v48, v56 :: v_dual_mov_b32 v7, v46
	s_delay_alu instid0(VALU_DEP_3)
	v_dual_fmac_f32 v8, 0xbf167918, v134 :: v_dual_add_f32 v137, v1, v28
	v_dual_sub_f32 v141, v37, v96 :: v_dual_sub_f32 v142, v38, v79
	scratch_store_b32 off, v7, off offset:272 ; 4-byte Folded Spill
	v_dual_fmac_f32 v8, 0x3e9e377a, v27 :: v_dual_sub_f32 v139, v45, v154
	v_dual_sub_f32 v144, v44, v101 :: v_dual_sub_f32 v143, v103, v80
	ds_store_b128 v46, v[137:140] offset:32
	ds_store_b128 v46, v[141:144] offset:48
	v_sub_f32_e32 v44, v52, v100
	v_dual_sub_f32 v46, v1, v28 :: v_dual_sub_f32 v45, v50, v95
	v_fma_f32 v28, -0.5, v155, v9
	v_or_b32_e32 v52, 0x80, v198
	v_fma_f32 v3, -0.5, v17, v3
	v_add_f32_e32 v1, v25, v35
	ds_store_b128 v7, v[44:47] offset:64
	v_add_f32_e32 v25, v133, v157
	v_mul_u32_u24_e32 v17, 10, v52
	v_fmamk_f32 v7, v111, 0x3f737871, v28
	v_fma_f32 v10, -0.5, v125, v10
	v_fmac_f32_e32 v28, 0xbf737871, v111
	s_delay_alu instid0(VALU_DEP_4) | instskip(NEXT) | instid1(VALU_DEP_4)
	v_dual_fmac_f32 v29, 0x3f737871, v112 :: v_dual_lshlrev_b32 v46, 3, v17
	v_fmac_f32_e32 v7, 0x3f167918, v135
	v_or_b32_e32 v51, 0x100, v198
	s_delay_alu instid0(VALU_DEP_4) | instskip(NEXT) | instid1(VALU_DEP_4)
	v_fmac_f32_e32 v28, 0xbf167918, v135
	v_fmac_f32_e32 v29, 0x3f167918, v134
	v_or_b32_e32 v50, 0x180, v198
	v_fmac_f32_e32 v7, 0x3e9e377a, v25
	s_delay_alu instid0(VALU_DEP_1)
	v_mul_f32_e32 v32, 0x3f4f1bbd, v7
	v_mul_f32_e32 v33, 0xbf167918, v7
	v_add_f32_e32 v7, v18, v31
	v_fma_f32 v31, -0.5, v19, v4
	v_fmac_f32_e32 v4, -0.5, v22
	v_fmac_f32_e32 v32, 0x3f167918, v8
	v_dual_fmac_f32 v33, 0x3f4f1bbd, v8 :: v_dual_add_f32 v8, v20, v30
	v_fmamk_f32 v22, v13, 0xbf737871, v21
	s_delay_alu instid0(VALU_DEP_4) | instskip(SKIP_1) | instid1(VALU_DEP_3)
	v_dual_fmamk_f32 v30, v14, 0x3f737871, v4 :: v_dual_fmac_f32 v21, 0x3f737871, v13
	v_dual_fmac_f32 v4, 0xbf737871, v14 :: v_dual_fmamk_f32 v45, v16, 0xbf737871, v31
	v_fmac_f32_e32 v22, 0x3f167918, v15
	s_delay_alu instid0(VALU_DEP_3) | instskip(SKIP_1) | instid1(VALU_DEP_4)
	v_fmac_f32_e32 v30, 0xbf167918, v16
	v_add_f32_e32 v18, v130, v145
	v_fmac_f32_e32 v4, 0x3f167918, v16
	v_fmac_f32_e32 v45, 0xbf167918, v14
	;; [unrolled: 1-line block ×6, first 2 shown]
	v_fmamk_f32 v44, v15, 0x3f737871, v3
	v_fmac_f32_e32 v45, 0x3e9e377a, v2
	v_dual_fmac_f32 v31, 0x3f737871, v16 :: v_dual_add_f32 v16, v91, v99
	v_fmac_f32_e32 v21, 0x3e9e377a, v7
	v_fma_f32 v7, -0.5, v127, v9
	v_fmac_f32_e32 v44, 0x3f167918, v13
	v_fmac_f32_e32 v29, 0x3e9e377a, v27
	;; [unrolled: 1-line block ×4, first 2 shown]
	v_fmamk_f32 v8, v135, 0xbf737871, v7
	v_fmac_f32_e32 v7, 0x3f737871, v135
	v_fmac_f32_e32 v44, 0x3e9e377a, v1
	v_mul_f32_e32 v14, 0xbf4f1bbd, v29
	v_fmac_f32_e32 v31, 0x3e9e377a, v2
	v_fmac_f32_e32 v8, 0x3f167918, v111
	s_delay_alu instid0(VALU_DEP_3) | instskip(SKIP_1) | instid1(VALU_DEP_3)
	v_dual_fmac_f32 v7, 0xbf167918, v111 :: v_dual_fmac_f32 v14, 0xbf167918, v28
	v_fmac_f32_e32 v3, 0xbf737871, v15
	v_fmac_f32_e32 v8, 0x3e9e377a, v18
	s_delay_alu instid0(VALU_DEP_3) | instskip(SKIP_2) | instid1(VALU_DEP_4)
	v_fmac_f32_e32 v7, 0x3e9e377a, v18
	v_fmamk_f32 v18, v134, 0x3f737871, v10
	v_fmac_f32_e32 v10, 0xbf737871, v134
	v_dual_add_f32 v9, v126, v158 :: v_dual_mul_f32 v36, 0xbf737871, v8
	s_delay_alu instid0(VALU_DEP_3) | instskip(NEXT) | instid1(VALU_DEP_3)
	v_dual_add_f32 v15, v41, v98 :: v_dual_fmac_f32 v18, 0xbf167918, v112
	v_fmac_f32_e32 v10, 0x3f167918, v112
	s_delay_alu instid0(VALU_DEP_2) | instskip(NEXT) | instid1(VALU_DEP_2)
	v_fmac_f32_e32 v18, 0x3e9e377a, v9
	v_fmac_f32_e32 v10, 0x3e9e377a, v9
	v_mul_f32_e32 v37, 0xbe9e377a, v7
	s_delay_alu instid0(VALU_DEP_3) | instskip(SKIP_1) | instid1(VALU_DEP_4)
	v_dual_add_f32 v9, v44, v32 :: v_dual_fmac_f32 v36, 0x3e9e377a, v18
	v_mul_f32_e32 v35, 0x3f737871, v18
	v_mul_f32_e32 v38, 0xbe9e377a, v10
	s_delay_alu instid0(VALU_DEP_3) | instskip(NEXT) | instid1(VALU_DEP_3)
	v_dual_fmac_f32 v37, 0x3f737871, v10 :: v_dual_add_f32 v18, v30, v36
	v_fmac_f32_e32 v35, 0x3e9e377a, v8
	s_delay_alu instid0(VALU_DEP_3) | instskip(NEXT) | instid1(VALU_DEP_3)
	v_dual_fmac_f32 v38, 0xbf737871, v7 :: v_dual_add_f32 v7, v23, v77
	v_dual_add_f32 v8, v26, v78 :: v_dual_add_f32 v19, v21, v37
	s_delay_alu instid0(VALU_DEP_2)
	v_dual_add_f32 v17, v22, v35 :: v_dual_add_f32 v20, v4, v38
	v_add_f32_e32 v10, v45, v33
	ds_store_b128 v46, v[7:10]
	ds_store_b128 v46, v[17:20] offset:16
	v_dual_sub_f32 v9, v23, v77 :: v_dual_sub_f32 v2, v4, v38
	v_dual_sub_f32 v4, v31, v14 :: v_dual_fmac_f32 v3, 0xbf167918, v13
	v_dual_mul_f32 v13, 0xbf4f1bbd, v28 :: v_dual_sub_f32 v10, v26, v78
	v_dual_sub_f32 v17, v44, v32 :: v_dual_add_f32 v8, v31, v14
	s_delay_alu instid0(VALU_DEP_3) | instskip(NEXT) | instid1(VALU_DEP_3)
	v_fmac_f32_e32 v3, 0x3e9e377a, v1
	v_fmac_f32_e32 v13, 0x3f167918, v29
	v_dual_sub_f32 v19, v22, v35 :: v_dual_sub_f32 v18, v45, v33
	v_sub_f32_e32 v20, v30, v36
	v_fma_f32 v22, -0.5, v39, v5
	s_delay_alu instid0(VALU_DEP_4)
	v_add_f32_e32 v7, v3, v13
	v_sub_f32_e32 v3, v3, v13
	v_fma_f32 v13, -0.5, v120, v12
	v_dual_fmac_f32 v12, -0.5, v115 :: v_dual_sub_f32 v1, v21, v37
	ds_store_b128 v46, v[7:10] offset:32
	ds_store_b128 v46, v[17:20] offset:48
	v_fma_f32 v5, -0.5, v88, v5
	v_fma_f32 v21, -0.5, v92, v6
	v_fmamk_f32 v7, v105, 0x3f737871, v12
	ds_store_b128 v46, v[1:4] offset:64
	v_fma_f32 v3, -0.5, v108, v11
	v_dual_fmamk_f32 v28, v24, 0x3f737871, v5 :: v_dual_add_f32 v1, v109, v124
	v_fmac_f32_e32 v12, 0xbf737871, v105
	v_add_f32_e32 v2, v117, v123
	s_delay_alu instid0(VALU_DEP_4) | instskip(SKIP_4) | instid1(VALU_DEP_4)
	v_fmamk_f32 v4, v106, 0xbf737871, v3
	v_fma_f32 v11, -0.5, v118, v11
	v_dual_fmac_f32 v6, -0.5, v89 :: v_dual_fmamk_f32 v9, v102, 0xbf737871, v13
	v_fmac_f32_e32 v7, 0xbf167918, v102
	v_dual_fmac_f32 v12, 0x3f167918, v102 :: v_dual_add_f32 v17, v107, v121
	v_fmamk_f32 v8, v93, 0x3f737871, v11
	v_add_f32_e32 v18, v113, v122
	s_delay_alu instid0(VALU_DEP_4)
	v_fmac_f32_e32 v7, 0x3e9e377a, v2
	v_fmamk_f32 v25, v42, 0x3f737871, v6
	v_fmac_f32_e32 v6, 0xbf737871, v42
	v_fmac_f32_e32 v9, 0xbf167918, v105
	;; [unrolled: 1-line block ×4, first 2 shown]
	v_dual_fmamk_f32 v29, v34, 0xbf737871, v21 :: v_dual_add_f32 v2, v87, v114
	s_delay_alu instid0(VALU_DEP_3) | instskip(SKIP_3) | instid1(VALU_DEP_4)
	v_dual_fmac_f32 v9, 0x3e9e377a, v18 :: v_dual_fmac_f32 v4, 0x3e9e377a, v1
	v_fmac_f32_e32 v8, 0x3f167918, v106
	v_fmac_f32_e32 v21, 0x3f737871, v34
	v_dual_fmac_f32 v3, 0x3f737871, v106 :: v_dual_mul_f32 v26, 0x3f737871, v7
	v_mul_f32_e32 v27, 0xbf737871, v4
	s_delay_alu instid0(VALU_DEP_4) | instskip(NEXT) | instid1(VALU_DEP_4)
	v_fmac_f32_e32 v8, 0x3e9e377a, v17
	v_fmac_f32_e32 v21, 0x3f167918, v42
	;; [unrolled: 1-line block ×5, first 2 shown]
	v_mul_f32_e32 v20, 0xbf167918, v8
	v_fmac_f32_e32 v21, 0x3e9e377a, v16
	v_fmac_f32_e32 v29, 0xbf167918, v42
	v_dual_mul_f32 v19, 0x3f4f1bbd, v8 :: v_dual_add_f32 v8, v43, v97
	s_delay_alu instid0(VALU_DEP_4) | instskip(SKIP_1) | instid1(VALU_DEP_4)
	v_fmac_f32_e32 v20, 0x3f4f1bbd, v9
	v_fmac_f32_e32 v11, 0xbf737871, v93
	;; [unrolled: 1-line block ×3, first 2 shown]
	v_fmamk_f32 v23, v40, 0xbf737871, v22
	v_fmac_f32_e32 v22, 0x3f737871, v40
	v_fmac_f32_e32 v3, 0xbf167918, v93
	;; [unrolled: 1-line block ×3, first 2 shown]
	v_add_f32_e32 v4, v29, v20
	v_fmac_f32_e32 v23, 0x3f167918, v24
	v_fmac_f32_e32 v22, 0xbf167918, v24
	;; [unrolled: 1-line block ×5, first 2 shown]
	v_dual_fmac_f32 v23, 0x3e9e377a, v8 :: v_dual_fmac_f32 v28, 0x3e9e377a, v15
	v_fmac_f32_e32 v22, 0x3e9e377a, v8
	v_dual_add_f32 v8, v90, v94 :: v_dual_fmac_f32 v3, 0x3e9e377a, v1
	v_fmac_f32_e32 v13, 0x3f167918, v105
	v_fmac_f32_e32 v11, 0x3e9e377a, v17
	s_delay_alu instid0(VALU_DEP_3) | instskip(NEXT) | instid1(VALU_DEP_4)
	v_dual_fmac_f32 v5, 0x3e9e377a, v15 :: v_dual_fmac_f32 v6, 0x3e9e377a, v8
	v_mul_f32_e32 v14, 0xbe9e377a, v3
	s_delay_alu instid0(VALU_DEP_4) | instskip(NEXT) | instid1(VALU_DEP_4)
	v_fmac_f32_e32 v13, 0x3e9e377a, v18
	v_mul_f32_e32 v15, 0xbf4f1bbd, v11
	v_fmac_f32_e32 v19, 0x3f167918, v9
	s_delay_alu instid0(VALU_DEP_4) | instskip(SKIP_1) | instid1(VALU_DEP_4)
	v_dual_add_f32 v1, v53, v110 :: v_dual_fmac_f32 v14, 0x3f737871, v12
	v_mul_f32_e32 v12, 0xbe9e377a, v12
	v_fmac_f32_e32 v15, 0x3f167918, v13
	v_mul_f32_e32 v13, 0xbf4f1bbd, v13
	scratch_store_b32 off, v46, off offset:268 ; 4-byte Folded Spill
	v_dual_add_f32 v9, v22, v14 :: v_dual_fmac_f32 v12, 0xbf737871, v3
	v_fmac_f32_e32 v27, 0x3e9e377a, v7
	v_mul_u32_u24_e32 v7, 10, v51
	v_fmac_f32_e32 v25, 0xbf167918, v34
	v_add_f32_e32 v3, v28, v19
	v_dual_fmac_f32 v13, 0xbf167918, v11 :: v_dual_add_f32 v10, v6, v12
	s_delay_alu instid0(VALU_DEP_3) | instskip(NEXT) | instid1(VALU_DEP_1)
	v_dual_fmac_f32 v25, 0x3e9e377a, v8 :: v_dual_lshlrev_b32 v30, 3, v7
	v_dual_add_f32 v7, v23, v26 :: v_dual_add_f32 v8, v25, v27
	ds_store_b128 v30, v[1:4]
	ds_store_b128 v30, v[7:10] offset:16
	v_sub_f32_e32 v4, v87, v114
	v_sub_f32_e32 v3, v53, v110
	v_add_f32_e32 v1, v5, v15
	v_dual_add_f32 v2, v21, v13 :: v_dual_sub_f32 v7, v28, v19
	v_dual_sub_f32 v9, v23, v26 :: v_dual_sub_f32 v8, v29, v20
	v_sub_f32_e32 v10, v25, v27
	scratch_store_b32 off, v30, off offset:264 ; 4-byte Folded Spill
	ds_store_b128 v30, v[1:4] offset:32
	ds_store_b128 v30, v[7:10] offset:48
	v_sub_f32_e32 v2, v6, v12
	v_sub_f32_e32 v1, v22, v14
	;; [unrolled: 1-line block ×4, first 2 shown]
	ds_store_b128 v30, v[1:4] offset:64
	v_mul_lo_u16 v1, 0x67, v198
	s_waitcnt lgkmcnt(0)
	s_waitcnt_vscnt null, 0x0
	s_barrier
	buffer_gl0_inv
	v_lshrrev_b16 v89, 10, v1
	v_mul_lo_u16 v1, 0xcd, v52
	s_delay_alu instid0(VALU_DEP_1) | instskip(NEXT) | instid1(VALU_DEP_3)
	v_lshrrev_b16 v53, 11, v1
	v_mul_lo_u16 v1, v89, 10
	s_delay_alu instid0(VALU_DEP_2) | instskip(NEXT) | instid1(VALU_DEP_2)
	v_mul_lo_u16 v2, v53, 10
	v_sub_nc_u16 v1, v198, v1
	s_delay_alu instid0(VALU_DEP_2) | instskip(NEXT) | instid1(VALU_DEP_2)
	v_sub_nc_u16 v2, v52, v2
	v_and_b32_e32 v88, 0xff, v1
	s_delay_alu instid0(VALU_DEP_2) | instskip(NEXT) | instid1(VALU_DEP_2)
	v_and_b32_e32 v87, 0xff, v2
	v_mad_u64_u32 v[1:2], null, v88, 40, s[10:11]
	s_clause 0x2
	global_load_b64 v[10:11], v[1:2], off offset:32
	global_load_b128 v[166:169], v[1:2], off
	global_load_b128 v[158:161], v[1:2], off offset:16
	ds_load_2addr_stride64_b64 v[13:16], v149 offset0:20 offset1:22
	s_waitcnt vmcnt(1) lgkmcnt(0)
	v_mul_f32_e32 v1, v14, v169
	v_mul_f32_e32 v4, v13, v169
	s_delay_alu instid0(VALU_DEP_2) | instskip(SKIP_1) | instid1(VALU_DEP_3)
	v_fma_f32 v3, v13, v168, -v1
	v_mad_u64_u32 v[1:2], null, v87, 40, s[10:11]
	v_fmac_f32_e32 v4, v14, v168
	global_load_b128 v[162:165], v[1:2], off
	s_waitcnt vmcnt(0)
	v_mul_f32_e32 v5, v16, v165
	v_mul_f32_e32 v125, v15, v165
	s_delay_alu instid0(VALU_DEP_2) | instskip(NEXT) | instid1(VALU_DEP_2)
	v_fma_f32 v126, v15, v164, -v5
	v_fmac_f32_e32 v125, v16, v164
	ds_load_2addr_stride64_b64 v[13:16], v149 offset0:40 offset1:42
	s_clause 0x1
	global_load_b64 v[8:9], v[1:2], off offset:32
	global_load_b128 v[150:153], v[1:2], off offset:16
	ds_load_2addr_stride64_b64 v[21:24], v149 offset0:12 offset1:14
	s_waitcnt lgkmcnt(1)
	v_mul_f32_e32 v6, v13, v161
	v_mul_f32_e32 v5, v14, v161
	s_waitcnt lgkmcnt(0)
	v_mul_f32_e32 v7, v22, v163
	s_delay_alu instid0(VALU_DEP_3) | instskip(NEXT) | instid1(VALU_DEP_3)
	v_dual_mul_f32 v117, v21, v163 :: v_dual_fmac_f32 v6, v14, v160
	v_fma_f32 v5, v13, v160, -v5
	s_delay_alu instid0(VALU_DEP_3) | instskip(NEXT) | instid1(VALU_DEP_3)
	v_fma_f32 v116, v21, v162, -v7
	v_fmac_f32_e32 v117, v22, v162
	s_waitcnt vmcnt(0)
	v_mul_f32_e32 v1, v16, v153
	v_mul_f32_e32 v128, v15, v153
	s_delay_alu instid0(VALU_DEP_2) | instskip(SKIP_1) | instid1(VALU_DEP_3)
	v_fma_f32 v131, v15, v152, -v1
	v_mul_u32_u24_e32 v1, 0x199a, v51
	v_fmac_f32_e32 v128, v16, v152
	s_delay_alu instid0(VALU_DEP_2) | instskip(NEXT) | instid1(VALU_DEP_1)
	v_lshrrev_b32_e32 v98, 16, v1
	v_mul_lo_u16 v1, v98, 10
	s_delay_alu instid0(VALU_DEP_1) | instskip(NEXT) | instid1(VALU_DEP_1)
	v_sub_nc_u16 v99, v51, v1
	v_mul_lo_u16 v1, v99, 40
	s_delay_alu instid0(VALU_DEP_1) | instskip(NEXT) | instid1(VALU_DEP_1)
	v_and_b32_e32 v1, 0xffff, v1
	v_add_co_u32 v1, s8, s10, v1
	s_delay_alu instid0(VALU_DEP_1)
	v_add_co_ci_u32_e64 v2, null, s11, 0, s8
	s_clause 0x2
	global_load_b128 v[154:157], v[1:2], off
	global_load_b128 v[140:143], v[1:2], off offset:16
	global_load_b64 v[12:13], v[1:2], off offset:32
	ds_load_2addr_stride64_b64 v[29:32], v149 offset0:52 offset1:54
	s_waitcnt lgkmcnt(0)
	v_mul_f32_e32 v134, v29, v9
	s_waitcnt vmcnt(2)
	s_delay_alu instid0(VALU_DEP_1) | instskip(SKIP_1) | instid1(VALU_DEP_2)
	v_dual_fmac_f32 v134, v30, v8 :: v_dual_mul_f32 v7, v24, v155
	v_mul_f32_e32 v97, v23, v155
	v_fma_f32 v96, v23, v154, -v7
	s_delay_alu instid0(VALU_DEP_2)
	v_fmac_f32_e32 v97, v24, v154
	ds_load_2addr_stride64_b64 v[21:24], v149 offset0:32 offset1:34
	v_sub_f32_e32 v15, v4, v6
	s_waitcnt lgkmcnt(0)
	v_mul_f32_e32 v7, v22, v151
	v_mul_f32_e32 v132, v21, v151
	s_delay_alu instid0(VALU_DEP_2) | instskip(SKIP_1) | instid1(VALU_DEP_2)
	v_fma_f32 v133, v21, v150, -v7
	s_waitcnt vmcnt(1)
	v_dual_mul_f32 v7, v24, v141 :: v_dual_fmac_f32 v132, v22, v150
	s_delay_alu instid0(VALU_DEP_1) | instskip(SKIP_1) | instid1(VALU_DEP_1)
	v_fma_f32 v110, v23, v140, -v7
	v_mul_u32_u24_e32 v7, 0x199a, v50
	v_lshrrev_b32_e32 v92, 16, v7
	s_delay_alu instid0(VALU_DEP_1) | instskip(NEXT) | instid1(VALU_DEP_1)
	v_mul_lo_u16 v7, v92, 10
	v_sub_nc_u16 v93, v50, v7
	v_mul_f32_e32 v7, v30, v9
	s_delay_alu instid0(VALU_DEP_2) | instskip(NEXT) | instid1(VALU_DEP_2)
	v_mul_lo_u16 v1, v93, 40
	v_fma_f32 v135, v29, v8, -v7
	s_delay_alu instid0(VALU_DEP_2) | instskip(NEXT) | instid1(VALU_DEP_1)
	v_and_b32_e32 v1, 0xffff, v1
	v_add_co_u32 v1, s8, s10, v1
	s_delay_alu instid0(VALU_DEP_1)
	v_add_co_ci_u32_e64 v2, null, s11, 0, s8
	global_load_b128 v[144:147], v[1:2], off
	s_waitcnt vmcnt(1)
	v_mul_f32_e32 v7, v32, v13
	v_mul_f32_e32 v118, v31, v13
	s_clause 0x1
	scratch_store_b64 off, v[8:9], off offset:284
	scratch_store_b64 off, v[12:13], off offset:276
	v_fma_f32 v119, v31, v12, -v7
	v_fmac_f32_e32 v118, v32, v12
	ds_load_2addr_stride64_b64 v[29:32], v149 offset0:24 offset1:26
	v_mov_b32_e32 v12, v11
	v_mov_b32_e32 v11, v10
	s_waitcnt lgkmcnt(0)
	v_mul_f32_e32 v7, v30, v157
	v_mul_f32_e32 v120, v29, v157
	s_delay_alu instid0(VALU_DEP_2) | instskip(SKIP_1) | instid1(VALU_DEP_2)
	v_fma_f32 v123, v29, v156, -v7
	s_waitcnt vmcnt(0)
	v_dual_fmac_f32 v120, v30, v156 :: v_dual_mul_f32 v7, v32, v147
	v_mul_f32_e32 v100, v31, v147
	s_delay_alu instid0(VALU_DEP_2) | instskip(NEXT) | instid1(VALU_DEP_2)
	v_fma_f32 v102, v31, v146, -v7
	v_fmac_f32_e32 v100, v32, v146
	ds_load_2addr_stride64_b64 v[29:32], v149 offset0:44 offset1:46
	s_clause 0x1
	global_load_b64 v[13:14], v[1:2], off offset:32
	global_load_b128 v[136:139], v[1:2], off offset:16
	ds_load_2addr_stride64_b64 v[39:42], v149 offset0:16 offset1:18
	s_waitcnt lgkmcnt(1)
	v_mul_f32_e32 v7, v30, v143
	v_mul_f32_e32 v124, v29, v143
	s_delay_alu instid0(VALU_DEP_2) | instskip(SKIP_1) | instid1(VALU_DEP_2)
	v_fma_f32 v127, v29, v142, -v7
	s_waitcnt lgkmcnt(0)
	v_dual_mul_f32 v7, v40, v145 :: v_dual_fmac_f32 v124, v30, v142
	s_delay_alu instid0(VALU_DEP_1) | instskip(SKIP_3) | instid1(VALU_DEP_2)
	v_fma_f32 v106, v39, v144, -v7
	s_waitcnt vmcnt(0)
	v_mul_f32_e32 v1, v32, v139
	v_mul_f32_e32 v112, v31, v139
	v_fma_f32 v115, v31, v138, -v1
	v_mul_u32_u24_e32 v1, 0x199a, v85
	s_delay_alu instid0(VALU_DEP_3) | instskip(NEXT) | instid1(VALU_DEP_2)
	v_fmac_f32_e32 v112, v32, v138
	v_lshrrev_b32_e32 v94, 16, v1
	s_delay_alu instid0(VALU_DEP_1) | instskip(NEXT) | instid1(VALU_DEP_1)
	v_mul_lo_u16 v1, v94, 10
	v_sub_nc_u16 v95, v85, v1
	s_delay_alu instid0(VALU_DEP_1) | instskip(NEXT) | instid1(VALU_DEP_1)
	v_mul_lo_u16 v1, v95, 40
	v_and_b32_e32 v1, 0xffff, v1
	s_delay_alu instid0(VALU_DEP_1) | instskip(NEXT) | instid1(VALU_DEP_1)
	v_add_co_u32 v1, s8, s10, v1
	v_add_co_ci_u32_e64 v2, null, s11, 0, s8
	s_clause 0x1
	global_load_b128 v[184:187], v[1:2], off
	global_load_b128 v[77:80], v[1:2], off offset:16
	ds_load_2addr_stride64_b64 v[45:48], v149 offset1:2
	s_clause 0x1
	scratch_store_b64 off, v[11:12], off offset:292
	scratch_store_b64 off, v[13:14], off offset:308
	s_waitcnt vmcnt(1)
	v_mul_f32_e32 v7, v42, v185
	v_mul_f32_e32 v91, v41, v185
	s_delay_alu instid0(VALU_DEP_2) | instskip(NEXT) | instid1(VALU_DEP_2)
	v_fma_f32 v90, v41, v184, -v7
	v_fmac_f32_e32 v91, v42, v184
	ds_load_2addr_stride64_b64 v[41:44], v149 offset0:28 offset1:30
	s_waitcnt lgkmcnt(0)
	v_mul_f32_e32 v7, v44, v159
	v_mul_f32_e32 v8, v43, v159
	;; [unrolled: 1-line block ×4, first 2 shown]
	s_delay_alu instid0(VALU_DEP_4) | instskip(NEXT) | instid1(VALU_DEP_4)
	v_fma_f32 v7, v43, v158, -v7
	v_fmac_f32_e32 v8, v44, v158
	s_delay_alu instid0(VALU_DEP_4) | instskip(NEXT) | instid1(VALU_DEP_4)
	v_fma_f32 v104, v41, v186, -v9
	v_fmac_f32_e32 v101, v42, v186
	ds_load_2addr_stride64_b64 v[41:44], v149 offset0:36 offset1:38
	s_waitcnt lgkmcnt(0)
	v_mul_f32_e32 v9, v42, v137
	v_mul_f32_e32 v121, v41, v137
	s_waitcnt vmcnt(0)
	v_mul_f32_e32 v103, v43, v78
	s_delay_alu instid0(VALU_DEP_3) | instskip(SKIP_2) | instid1(VALU_DEP_4)
	v_fma_f32 v122, v41, v136, -v9
	v_mul_f32_e32 v9, v44, v78
	v_fmac_f32_e32 v121, v42, v136
	v_fmac_f32_e32 v103, v44, v77
	s_delay_alu instid0(VALU_DEP_3)
	v_fma_f32 v105, v43, v77, -v9
	ds_load_2addr_stride64_b64 v[41:44], v149 offset0:48 offset1:50
	s_waitcnt lgkmcnt(0)
	v_mul_f32_e32 v9, v44, v12
	v_mul_f32_e32 v10, v43, v12
	;; [unrolled: 1-line block ×3, first 2 shown]
	s_delay_alu instid0(VALU_DEP_3) | instskip(NEXT) | instid1(VALU_DEP_3)
	v_fma_f32 v9, v43, v11, -v9
	v_dual_fmac_f32 v10, v44, v11 :: v_dual_mul_f32 v11, v42, v80
	s_delay_alu instid0(VALU_DEP_3) | instskip(NEXT) | instid1(VALU_DEP_2)
	v_fmac_f32_e32 v108, v42, v79
	v_fma_f32 v111, v41, v79, -v11
	global_load_b64 v[11:12], v[1:2], off offset:32
	ds_load_2addr_stride64_b64 v[41:44], v149 offset0:56 offset1:58
	s_waitcnt lgkmcnt(0)
	v_mul_f32_e32 v1, v42, v14
	v_mul_f32_e32 v129, v41, v14
	s_delay_alu instid0(VALU_DEP_2) | instskip(NEXT) | instid1(VALU_DEP_2)
	v_fma_f32 v130, v41, v13, -v1
	v_fmac_f32_e32 v129, v42, v13
	s_waitcnt vmcnt(0)
	v_mul_f32_e32 v1, v44, v12
	v_mul_f32_e32 v113, v43, v12
	scratch_store_b64 off, v[11:12], off offset:300 ; 8-byte Folded Spill
	v_fma_f32 v114, v43, v11, -v1
	v_fmac_f32_e32 v113, v44, v11
	ds_load_2addr_stride64_b64 v[41:44], v149 offset0:8 offset1:10
	v_add_f32_e32 v1, v45, v3
	s_delay_alu instid0(VALU_DEP_1) | instskip(SKIP_2) | instid1(VALU_DEP_2)
	v_add_f32_e32 v11, v1, v5
	v_add_f32_e32 v1, v3, v5
	v_sub_f32_e32 v5, v3, v5
	v_fma_f32 v17, -0.5, v1, v45
	s_waitcnt lgkmcnt(0)
	v_mul_f32_e32 v2, v44, v167
	v_mul_f32_e32 v13, v43, v167
	s_delay_alu instid0(VALU_DEP_2) | instskip(NEXT) | instid1(VALU_DEP_2)
	v_fma_f32 v12, v43, v166, -v2
	v_dual_add_f32 v2, v7, v9 :: v_dual_fmac_f32 v13, v44, v166
	s_delay_alu instid0(VALU_DEP_1) | instskip(SKIP_1) | instid1(VALU_DEP_3)
	v_dual_add_f32 v3, v12, v7 :: v_dual_fmac_f32 v12, -0.5, v2
	v_add_f32_e32 v2, v8, v10
	v_add_f32_e32 v14, v13, v8
	v_dual_sub_f32 v8, v8, v10 :: v_dual_sub_f32 v7, v7, v9
	v_mul_f32_e32 v109, v23, v141
	s_delay_alu instid0(VALU_DEP_4) | instskip(SKIP_2) | instid1(VALU_DEP_3)
	v_dual_fmac_f32 v13, -0.5, v2 :: v_dual_add_f32 v2, v46, v4
	v_add_f32_e32 v4, v4, v6
	v_add_f32_e32 v10, v14, v10
	;; [unrolled: 1-line block ×3, first 2 shown]
	s_delay_alu instid0(VALU_DEP_3)
	v_fma_f32 v18, -0.5, v4, v46
	ds_load_2addr_stride64_b64 v[43:46], v149 offset0:4 offset1:6
	v_add_f32_e32 v9, v3, v9
	v_fmamk_f32 v3, v8, 0x3f5db3d7, v12
	v_fmamk_f32 v2, v7, 0xbf5db3d7, v13
	v_dual_fmac_f32 v109, v24, v140 :: v_dual_fmamk_f32 v20, v5, 0xbf5db3d7, v18
	s_delay_alu instid0(VALU_DEP_3) | instskip(NEXT) | instid1(VALU_DEP_3)
	v_dual_add_f32 v1, v11, v9 :: v_dual_mul_f32 v16, 0xbf5db3d7, v3
	v_dual_mul_f32 v14, 0x3f5db3d7, v2 :: v_dual_fmamk_f32 v19, v15, 0x3f5db3d7, v17
	v_fmac_f32_e32 v13, 0x3f5db3d7, v7
	s_waitcnt lgkmcnt(0)
	s_waitcnt_vscnt null, 0x0
	v_fmac_f32_e32 v16, 0.5, v2
	v_and_b32_e32 v2, 0xffff, v89
	v_fmac_f32_e32 v14, 0.5, v3
	s_barrier
	buffer_gl0_inv
	v_add_f32_e32 v4, v20, v16
	v_mul_u32_u24_e32 v2, 60, v2
	v_dual_add_f32 v3, v19, v14 :: v_dual_fmac_f32 v12, 0xbf5db3d7, v8
	v_fmac_f32_e32 v18, 0x3f5db3d7, v5
	v_fmac_f32_e32 v17, 0xbf5db3d7, v15
	s_delay_alu instid0(VALU_DEP_4) | instskip(NEXT) | instid1(VALU_DEP_4)
	v_add_lshl_u32 v21, v2, v88, 3
	v_dual_add_f32 v2, v6, v10 :: v_dual_mul_f32 v5, -0.5, v12
	v_add_f32_e32 v7, v117, v132
	v_sub_f32_e32 v8, v125, v128
	v_mul_u32_u24_e32 v89, 0x445, v85
	ds_store_2addr_b64 v21, v[1:2], v[3:4] offset1:10
	v_sub_f32_e32 v2, v6, v10
	v_mul_f32_e32 v6, -0.5, v13
	v_mul_f32_e32 v107, v39, v145
	v_fmac_f32_e32 v5, 0x3f5db3d7, v13
	v_dual_sub_f32 v1, v11, v9 :: v_dual_sub_f32 v10, v133, v135
	s_delay_alu instid0(VALU_DEP_4) | instskip(NEXT) | instid1(VALU_DEP_4)
	v_fmac_f32_e32 v6, 0xbf5db3d7, v12
	v_fmac_f32_e32 v107, v40, v144
	s_delay_alu instid0(VALU_DEP_4) | instskip(SKIP_1) | instid1(VALU_DEP_4)
	v_dual_add_f32 v3, v17, v5 :: v_dual_sub_f32 v12, v132, v134
	v_add_f32_e32 v7, v7, v134
	v_add_f32_e32 v4, v18, v6
	v_lshrrev_b32_e32 v33, 16, v89
	v_mul_u32_u24_e32 v88, 0x445, v49
	ds_store_2addr_b64 v21, v[3:4], v[1:2] offset0:20 offset1:30
	v_dual_sub_f32 v1, v19, v14 :: v_dual_sub_f32 v2, v20, v16
	v_dual_sub_f32 v3, v17, v5 :: v_dual_sub_f32 v4, v18, v6
	v_sub_f32_e32 v6, v126, v131
	v_lshrrev_b32_e32 v39, 16, v88
	ds_store_2addr_b64 v21, v[1:2], v[3:4] offset0:40 offset1:50
	v_add_f32_e32 v3, v133, v135
	v_dual_add_f32 v1, v125, v128 :: v_dual_add_f32 v4, v116, v133
	v_add_f32_e32 v2, v48, v125
	s_delay_alu instid0(VALU_DEP_3) | instskip(NEXT) | instid1(VALU_DEP_3)
	v_dual_fmac_f32 v116, -0.5, v3 :: v_dual_add_f32 v3, v132, v134
	v_dual_fmac_f32 v48, -0.5, v1 :: v_dual_add_f32 v1, v47, v126
	s_delay_alu instid0(VALU_DEP_3) | instskip(SKIP_1) | instid1(VALU_DEP_4)
	v_add_f32_e32 v9, v2, v128
	v_add_f32_e32 v11, v4, v135
	v_fmac_f32_e32 v117, -0.5, v3
	v_fmamk_f32 v3, v12, 0x3f5db3d7, v116
	v_add_f32_e32 v5, v1, v131
	v_add_f32_e32 v1, v126, v131
	v_fmamk_f32 v17, v6, 0xbf5db3d7, v48
	v_fmamk_f32 v2, v10, 0xbf5db3d7, v117
	v_mul_f32_e32 v14, 0xbf5db3d7, v3
	v_fmac_f32_e32 v116, 0xbf5db3d7, v12
	v_fma_f32 v15, -0.5, v1, v47
	v_add_f32_e32 v1, v5, v11
	v_mul_f32_e32 v13, 0x3f5db3d7, v2
	v_fmac_f32_e32 v14, 0.5, v2
	v_and_b32_e32 v2, 0xffff, v53
	v_fmamk_f32 v16, v8, 0x3f5db3d7, v15
	v_fmac_f32_e32 v117, 0x3f5db3d7, v10
	v_fmac_f32_e32 v48, 0x3f5db3d7, v6
	v_dual_add_f32 v4, v17, v14 :: v_dual_fmac_f32 v13, 0.5, v3
	v_mul_u32_u24_e32 v2, 60, v2
	s_delay_alu instid0(VALU_DEP_4) | instskip(NEXT) | instid1(VALU_DEP_3)
	v_dual_mul_f32 v6, -0.5, v117 :: v_dual_fmac_f32 v15, 0xbf5db3d7, v8
	v_dual_sub_f32 v10, v110, v119 :: v_dual_add_f32 v3, v16, v13
	s_delay_alu instid0(VALU_DEP_3) | instskip(SKIP_1) | instid1(VALU_DEP_4)
	v_add_lshl_u32 v18, v2, v87, 3
	v_add_f32_e32 v2, v9, v7
	v_fmac_f32_e32 v6, 0xbf5db3d7, v116
	v_sub_f32_e32 v12, v109, v118
	v_add_f32_e32 v8, v120, v124
	scratch_store_b32 off, v18, off offset:328 ; 4-byte Folded Spill
	ds_store_2addr_b64 v18, v[1:2], v[3:4] offset1:10
	v_sub_f32_e32 v1, v5, v11
	v_dual_mul_f32 v5, -0.5, v116 :: v_dual_sub_f32 v2, v9, v7
	v_add_f32_e32 v4, v48, v6
	v_sub_f32_e32 v7, v120, v124
	v_fma_f32 v8, -0.5, v8, v44
	s_delay_alu instid0(VALU_DEP_4) | instskip(SKIP_2) | instid1(VALU_DEP_3)
	v_fmac_f32_e32 v5, 0x3f5db3d7, v117
	v_mul_u32_u24_e32 v47, 0x889, v83
	v_mul_u32_u24_e32 v87, 0x889, v170
	v_add_f32_e32 v3, v15, v5
	s_delay_alu instid0(VALU_DEP_2)
	v_lshrrev_b32_e32 v135, 17, v87
	ds_store_2addr_b64 v18, v[3:4], v[1:2] offset0:20 offset1:30
	v_dual_sub_f32 v2, v48, v6 :: v_dual_sub_f32 v1, v15, v5
	v_dual_sub_f32 v3, v16, v13 :: v_dual_sub_f32 v4, v17, v14
	v_sub_f32_e32 v6, v123, v127
	v_mul_u32_u24_e32 v48, 0x889, v57
	ds_store_2addr_b64 v18, v[3:4], v[1:2] offset0:40 offset1:50
	v_dual_add_f32 v2, v110, v119 :: v_dual_add_f32 v3, v96, v110
	v_dual_add_f32 v4, v97, v109 :: v_dual_add_f32 v1, v43, v123
	v_fmamk_f32 v19, v6, 0xbf5db3d7, v8
	s_delay_alu instid0(VALU_DEP_3) | instskip(NEXT) | instid1(VALU_DEP_4)
	v_fmac_f32_e32 v96, -0.5, v2
	v_dual_add_f32 v2, v109, v118 :: v_dual_add_f32 v11, v3, v119
	s_delay_alu instid0(VALU_DEP_4) | instskip(SKIP_1) | instid1(VALU_DEP_4)
	v_add_f32_e32 v5, v1, v127
	v_add_f32_e32 v1, v123, v127
	v_fmamk_f32 v3, v12, 0x3f5db3d7, v96
	s_delay_alu instid0(VALU_DEP_4) | instskip(SKIP_1) | instid1(VALU_DEP_4)
	v_dual_fmac_f32 v97, -0.5, v2 :: v_dual_add_f32 v2, v44, v120
	v_add_f32_e32 v13, v4, v118
	v_fma_f32 v16, -0.5, v1, v43
	s_delay_alu instid0(VALU_DEP_4)
	v_mul_f32_e32 v15, 0xbf5db3d7, v3
	v_add_f32_e32 v1, v5, v11
	v_add_f32_e32 v9, v2, v124
	v_fmamk_f32 v2, v10, 0xbf5db3d7, v97
	v_fmamk_f32 v18, v7, 0x3f5db3d7, v16
	v_fmac_f32_e32 v96, 0xbf5db3d7, v12
	v_fmac_f32_e32 v97, 0x3f5db3d7, v10
	;; [unrolled: 1-line block ×3, first 2 shown]
	v_mul_f32_e32 v14, 0x3f5db3d7, v2
	v_dual_fmac_f32 v15, 0.5, v2 :: v_dual_add_f32 v2, v9, v13
	s_delay_alu instid0(VALU_DEP_4) | instskip(SKIP_1) | instid1(VALU_DEP_4)
	v_mul_f32_e32 v6, -0.5, v97
	v_fmac_f32_e32 v16, 0xbf5db3d7, v7
	v_fmac_f32_e32 v14, 0.5, v3
	v_mad_u16 v3, v98, 60, v99
	v_add_f32_e32 v4, v19, v15
	v_dual_fmac_f32 v6, 0xbf5db3d7, v96 :: v_dual_add_f32 v7, v107, v121
	s_delay_alu instid0(VALU_DEP_3) | instskip(SKIP_1) | instid1(VALU_DEP_3)
	v_dual_sub_f32 v10, v122, v130 :: v_dual_and_b32 v17, 0xffff, v3
	v_dual_add_f32 v3, v18, v14 :: v_dual_sub_f32 v12, v121, v129
	v_add_f32_e32 v7, v7, v129
	v_lshrrev_b32_e32 v133, 17, v48
	s_delay_alu instid0(VALU_DEP_4)
	v_lshlrev_b32_e32 v17, 3, v17
	ds_store_2addr_b64 v17, v[1:2], v[3:4] offset1:10
	v_sub_f32_e32 v1, v5, v11
	v_dual_mul_f32 v5, -0.5, v96 :: v_dual_sub_f32 v2, v9, v13
	v_add_f32_e32 v4, v8, v6
	scratch_store_b32 off, v17, off offset:324 ; 4-byte Folded Spill
	v_fmac_f32_e32 v5, 0x3f5db3d7, v97
	s_delay_alu instid0(VALU_DEP_1)
	v_add_f32_e32 v3, v16, v5
	ds_store_2addr_b64 v17, v[3:4], v[1:2] offset0:20 offset1:30
	v_dual_sub_f32 v1, v18, v14 :: v_dual_sub_f32 v2, v19, v15
	v_sub_f32_e32 v3, v16, v5
	v_sub_f32_e32 v4, v8, v6
	;; [unrolled: 1-line block ×4, first 2 shown]
	ds_store_2addr_b64 v17, v[1:2], v[3:4] offset0:40 offset1:50
	v_add_f32_e32 v3, v122, v130
	v_add_f32_e32 v4, v106, v122
	;; [unrolled: 1-line block ×3, first 2 shown]
	s_delay_alu instid0(VALU_DEP_3) | instskip(SKIP_1) | instid1(VALU_DEP_2)
	v_dual_add_f32 v1, v100, v112 :: v_dual_fmac_f32 v106, -0.5, v3
	v_add_f32_e32 v3, v121, v129
	v_dual_add_f32 v9, v2, v112 :: v_dual_fmac_f32 v46, -0.5, v1
	v_add_f32_e32 v1, v45, v102
	v_add_f32_e32 v11, v4, v130
	s_delay_alu instid0(VALU_DEP_4) | instskip(SKIP_1) | instid1(VALU_DEP_4)
	v_fmac_f32_e32 v107, -0.5, v3
	v_fmamk_f32 v3, v12, 0x3f5db3d7, v106
	v_dual_fmamk_f32 v18, v6, 0xbf5db3d7, v46 :: v_dual_add_f32 v5, v1, v115
	v_add_f32_e32 v1, v102, v115
	s_delay_alu instid0(VALU_DEP_4) | instskip(NEXT) | instid1(VALU_DEP_4)
	v_fmamk_f32 v2, v10, 0xbf5db3d7, v107
	v_mul_f32_e32 v14, 0xbf5db3d7, v3
	v_fmac_f32_e32 v106, 0xbf5db3d7, v12
	v_fmac_f32_e32 v107, 0x3f5db3d7, v10
	v_fma_f32 v15, -0.5, v1, v45
	v_mul_f32_e32 v13, 0x3f5db3d7, v2
	v_dual_fmac_f32 v14, 0.5, v2 :: v_dual_add_f32 v1, v5, v11
	s_delay_alu instid0(VALU_DEP_3) | instskip(NEXT) | instid1(VALU_DEP_3)
	v_dual_add_f32 v2, v9, v7 :: v_dual_fmamk_f32 v17, v8, 0x3f5db3d7, v15
	v_fmac_f32_e32 v13, 0.5, v3
	v_mad_u16 v3, v92, 60, v93
	s_delay_alu instid0(VALU_DEP_4) | instskip(SKIP_2) | instid1(VALU_DEP_4)
	v_add_f32_e32 v4, v18, v14
	v_fmac_f32_e32 v46, 0x3f5db3d7, v6
	v_dual_mul_f32 v6, -0.5, v107 :: v_dual_fmac_f32 v15, 0xbf5db3d7, v8
	v_dual_add_f32 v3, v17, v13 :: v_dual_and_b32 v16, 0xffff, v3
	v_sub_f32_e32 v10, v105, v114
	s_delay_alu instid0(VALU_DEP_3) | instskip(SKIP_1) | instid1(VALU_DEP_4)
	v_fmac_f32_e32 v6, 0xbf5db3d7, v106
	v_sub_f32_e32 v12, v103, v113
	v_lshlrev_b32_e32 v16, 3, v16
	scratch_store_b32 off, v21, off offset:320 ; 4-byte Folded Spill
	v_sub_f32_e32 v8, v101, v108
	v_lshrrev_b32_e32 v129, 17, v47
	ds_store_2addr_b64 v16, v[1:2], v[3:4] offset1:10
	v_sub_f32_e32 v1, v5, v11
	v_dual_mul_f32 v5, -0.5, v106 :: v_dual_sub_f32 v2, v9, v7
	v_dual_add_f32 v4, v46, v6 :: v_dual_add_f32 v7, v91, v103
	scratch_store_b32 off, v16, off offset:316 ; 4-byte Folded Spill
	v_fmac_f32_e32 v5, 0x3f5db3d7, v107
	v_add_f32_e32 v7, v7, v113
	s_delay_alu instid0(VALU_DEP_2)
	v_add_f32_e32 v3, v15, v5
	ds_store_2addr_b64 v16, v[3:4], v[1:2] offset0:20 offset1:30
	v_dual_sub_f32 v2, v46, v6 :: v_dual_sub_f32 v1, v15, v5
	v_dual_sub_f32 v3, v17, v13 :: v_dual_sub_f32 v4, v18, v14
	v_sub_f32_e32 v6, v104, v111
	ds_store_2addr_b64 v16, v[3:4], v[1:2] offset0:40 offset1:50
	v_dual_add_f32 v3, v105, v114 :: v_dual_add_f32 v4, v90, v105
	v_dual_add_f32 v1, v101, v108 :: v_dual_add_f32 v2, v42, v101
	s_delay_alu instid0(VALU_DEP_2) | instskip(NEXT) | instid1(VALU_DEP_2)
	v_dual_fmac_f32 v90, -0.5, v3 :: v_dual_add_f32 v3, v103, v113
	v_dual_fmac_f32 v42, -0.5, v1 :: v_dual_add_f32 v1, v41, v104
	s_delay_alu instid0(VALU_DEP_3) | instskip(SKIP_1) | instid1(VALU_DEP_4)
	v_add_f32_e32 v9, v2, v108
	v_add_f32_e32 v11, v4, v114
	v_fmac_f32_e32 v91, -0.5, v3
	v_fmamk_f32 v3, v12, 0x3f5db3d7, v90
	v_add_f32_e32 v5, v1, v111
	v_dual_add_f32 v1, v104, v111 :: v_dual_fmamk_f32 v18, v6, 0xbf5db3d7, v42
	s_delay_alu instid0(VALU_DEP_4) | instskip(NEXT) | instid1(VALU_DEP_4)
	v_fmamk_f32 v2, v10, 0xbf5db3d7, v91
	v_mul_f32_e32 v14, 0xbf5db3d7, v3
	v_fmac_f32_e32 v90, 0xbf5db3d7, v12
	s_delay_alu instid0(VALU_DEP_4) | instskip(SKIP_3) | instid1(VALU_DEP_4)
	v_fma_f32 v15, -0.5, v1, v41
	v_add_f32_e32 v1, v5, v11
	v_mul_f32_e32 v13, 0x3f5db3d7, v2
	v_fmac_f32_e32 v14, 0.5, v2
	v_dual_add_f32 v2, v9, v7 :: v_dual_fmamk_f32 v17, v8, 0x3f5db3d7, v15
	v_fmac_f32_e32 v91, 0x3f5db3d7, v10
	s_delay_alu instid0(VALU_DEP_4) | instskip(SKIP_4) | instid1(VALU_DEP_4)
	v_fmac_f32_e32 v13, 0.5, v3
	v_mad_u16 v3, v94, 60, v95
	v_add_f32_e32 v4, v18, v14
	v_fmac_f32_e32 v42, 0x3f5db3d7, v6
	v_dual_mul_f32 v6, -0.5, v91 :: v_dual_fmac_f32 v15, 0xbf5db3d7, v8
	v_dual_add_f32 v3, v17, v13 :: v_dual_and_b32 v16, 0xffff, v3
	v_mul_lo_u16 v41, 0x89, v52
	s_delay_alu instid0(VALU_DEP_3) | instskip(NEXT) | instid1(VALU_DEP_3)
	v_fmac_f32_e32 v6, 0xbf5db3d7, v90
	v_lshlrev_b32_e32 v16, 3, v16
	s_delay_alu instid0(VALU_DEP_3)
	v_lshrrev_b16 v53, 13, v41
	ds_store_2addr_b64 v16, v[1:2], v[3:4] offset1:10
	v_sub_f32_e32 v1, v5, v11
	v_dual_mul_f32 v5, -0.5, v90 :: v_dual_sub_f32 v2, v9, v7
	v_add_f32_e32 v4, v42, v6
	scratch_store_b32 off, v16, off offset:332 ; 4-byte Folded Spill
	v_mul_u32_u24_e32 v90, 0x445, v86
	v_fmac_f32_e32 v5, 0x3f5db3d7, v91
	v_mul_u32_u24_e32 v91, 0x445, v84
	s_delay_alu instid0(VALU_DEP_3) | instskip(NEXT) | instid1(VALU_DEP_3)
	v_lshrrev_b32_e32 v35, 16, v90
	v_add_f32_e32 v3, v15, v5
	s_delay_alu instid0(VALU_DEP_3)
	v_lshrrev_b32_e32 v37, 16, v91
	ds_store_2addr_b64 v16, v[3:4], v[1:2] offset0:20 offset1:30
	v_dual_sub_f32 v2, v42, v6 :: v_dual_sub_f32 v1, v15, v5
	v_dual_sub_f32 v3, v17, v13 :: v_dual_sub_f32 v4, v18, v14
	ds_store_2addr_b64 v16, v[3:4], v[1:2] offset0:40 offset1:50
	v_mul_u32_u24_e32 v1, 0x445, v51
	s_waitcnt lgkmcnt(0)
	s_waitcnt_vscnt null, 0x0
	s_barrier
	buffer_gl0_inv
	v_lshrrev_b32_e32 v42, 16, v1
	v_mul_lo_u16 v1, v53, 60
	s_delay_alu instid0(VALU_DEP_2) | instskip(NEXT) | instid1(VALU_DEP_2)
	v_mul_lo_u16 v2, v42, 60
	v_sub_nc_u16 v1, v52, v1
	s_delay_alu instid0(VALU_DEP_2) | instskip(SKIP_1) | instid1(VALU_DEP_3)
	v_sub_nc_u16 v92, v51, v2
	v_mul_u32_u24_e32 v2, 0x445, v50
	v_and_b32_e32 v93, 0xff, v1
	s_delay_alu instid0(VALU_DEP_3) | instskip(NEXT) | instid1(VALU_DEP_3)
	v_and_b32_e32 v1, 0xffff, v92
	v_lshrrev_b32_e32 v29, 16, v2
	v_mul_lo_u16 v2, 0x89, v198
	s_delay_alu instid0(VALU_DEP_3) | instskip(NEXT) | instid1(VALU_DEP_2)
	v_lshlrev_b32_e32 v1, 3, v1
	v_lshrrev_b16 v30, 13, v2
	s_delay_alu instid0(VALU_DEP_4) | instskip(NEXT) | instid1(VALU_DEP_1)
	v_mul_lo_u16 v2, v29, 60
	v_sub_nc_u16 v31, v50, v2
	s_delay_alu instid0(VALU_DEP_3) | instskip(SKIP_1) | instid1(VALU_DEP_3)
	v_mul_lo_u16 v2, v30, 60
	v_and_b32_e32 v30, 0xffff, v30
	v_and_b32_e32 v3, 0xffff, v31
	s_delay_alu instid0(VALU_DEP_3) | instskip(NEXT) | instid1(VALU_DEP_3)
	v_sub_nc_u16 v2, v198, v2
	v_mul_u32_u24_e32 v30, 0x78, v30
	s_delay_alu instid0(VALU_DEP_3) | instskip(NEXT) | instid1(VALU_DEP_3)
	v_lshlrev_b32_e32 v3, 3, v3
	v_and_b32_e32 v32, 0xff, v2
	v_lshlrev_b32_e32 v2, 3, v93
	s_delay_alu instid0(VALU_DEP_2)
	v_add_lshl_u32 v30, v30, v32, 3
	global_load_b64 v[11:12], v2, s[10:11] offset:400
	s_waitcnt vmcnt(0)
	scratch_store_b64 off, v[11:12], off offset:344 ; 8-byte Folded Spill
	s_clause 0x1
	global_load_b64 v[9:10], v1, s[10:11] offset:400
	global_load_b64 v[5:6], v3, s[10:11] offset:400
	ds_load_2addr_stride64_b64 v[43:46], v149 offset0:32 offset1:34
	v_lshlrev_b32_e32 v1, 3, v32
	v_mul_u32_u24_e32 v32, 0x223, v50
	global_load_b64 v[7:8], v1, s[10:11] offset:400
	s_waitcnt lgkmcnt(0)
	v_mul_f32_e32 v1, v44, v12
	v_mul_f32_e32 v4, v43, v12
	s_delay_alu instid0(VALU_DEP_2) | instskip(NEXT) | instid1(VALU_DEP_2)
	v_fma_f32 v3, v43, v11, -v1
	v_fmac_f32_e32 v4, v44, v11
	s_waitcnt vmcnt(2)
	v_dual_mov_b32 v12, v10 :: v_dual_mov_b32 v11, v9
	s_delay_alu instid0(VALU_DEP_1)
	v_mul_f32_e32 v1, v46, v12
	v_mul_f32_e32 v10, v45, v12
	scratch_store_b64 off, v[11:12], off offset:336 ; 8-byte Folded Spill
	v_fma_f32 v9, v45, v11, -v1
	v_fmac_f32_e32 v10, v46, v11
	ds_load_2addr_stride64_b64 v[43:46], v149 offset0:36 offset1:38
	v_mul_lo_u16 v1, v33, 60
	s_delay_alu instid0(VALU_DEP_1) | instskip(NEXT) | instid1(VALU_DEP_1)
	v_sub_nc_u16 v34, v85, v1
	v_and_b32_e32 v1, 0xffff, v34
	s_waitcnt vmcnt(1) lgkmcnt(0)
	s_delay_alu instid0(VALU_DEP_1) | instskip(SKIP_4) | instid1(VALU_DEP_3)
	v_dual_mul_f32 v2, v44, v6 :: v_dual_lshlrev_b32 v1, 3, v1
	global_load_b64 v[19:20], v1, s[10:11] offset:400
	v_mul_f32_e32 v12, v43, v6
	v_fma_f32 v11, v43, v5, -v2
	v_mul_lo_u16 v2, v35, 60
	v_fmac_f32_e32 v12, v44, v5
	s_delay_alu instid0(VALU_DEP_2) | instskip(SKIP_1) | instid1(VALU_DEP_1)
	v_sub_nc_u16 v36, v86, v2
	v_mul_lo_u16 v2, v37, 60
	v_sub_nc_u16 v38, v84, v2
	s_delay_alu instid0(VALU_DEP_3) | instskip(NEXT) | instid1(VALU_DEP_1)
	v_and_b32_e32 v2, 0xffff, v36
	v_lshlrev_b32_e32 v2, 3, v2
	global_load_b64 v[15:16], v2, s[10:11] offset:400
	scratch_store_b64 off, v[5:6], off offset:352 ; 8-byte Folded Spill
	v_mul_lo_u16 v5, v39, 60
	s_delay_alu instid0(VALU_DEP_1) | instskip(SKIP_1) | instid1(VALU_DEP_2)
	v_sub_nc_u16 v40, v49, v5
	v_and_b32_e32 v5, 0xffff, v38
	v_and_b32_e32 v6, 0xffff, v40
	s_delay_alu instid0(VALU_DEP_2) | instskip(NEXT) | instid1(VALU_DEP_2)
	v_lshlrev_b32_e32 v5, 3, v5
	v_lshlrev_b32_e32 v6, 3, v6
	s_waitcnt vmcnt(1)
	scratch_store_b64 off, v[19:20], off offset:376 ; 8-byte Folded Spill
	v_mul_f32_e32 v1, v46, v20
	v_mul_f32_e32 v18, v45, v20
	s_delay_alu instid0(VALU_DEP_2) | instskip(NEXT) | instid1(VALU_DEP_2)
	v_fma_f32 v17, v45, v19, -v1
	v_fmac_f32_e32 v18, v46, v19
	s_waitcnt vmcnt(0)
	scratch_store_b64 off, v[15:16], off offset:368 ; 8-byte Folded Spill
	s_clause 0x1
	global_load_b64 v[13:14], v5, s[10:11] offset:400
	global_load_b64 v[5:6], v6, s[10:11] offset:400
	ds_load_2addr_stride64_b64 v[43:46], v149 offset0:40 offset1:42
	ds_load_2addr_stride64_b64 v[94:97], v149 offset0:44 offset1:46
	s_waitcnt lgkmcnt(1)
	v_mul_f32_e32 v1, v44, v16
	v_mul_f32_e32 v20, v43, v16
	s_delay_alu instid0(VALU_DEP_2) | instskip(SKIP_1) | instid1(VALU_DEP_3)
	v_fma_f32 v19, v43, v15, -v1
	v_mul_u32_u24_e32 v43, 0x889, v81
	v_fmac_f32_e32 v20, v44, v15
	v_mul_u32_u24_e32 v44, 0x889, v0
	s_delay_alu instid0(VALU_DEP_3) | instskip(NEXT) | instid1(VALU_DEP_2)
	v_lshrrev_b32_e32 v54, 17, v43
	v_lshrrev_b32_e32 v131, 17, v44
	s_waitcnt vmcnt(1)
	v_mul_f32_e32 v1, v46, v14
	v_mul_f32_e32 v26, v45, v14
	s_waitcnt vmcnt(0) lgkmcnt(0)
	v_mul_f32_e32 v2, v95, v6
	v_mul_f32_e32 v28, v94, v6
	scratch_store_b64 off, v[13:14], off offset:360 ; 8-byte Folded Spill
	v_fma_f32 v25, v45, v13, -v1
	v_mul_u32_u24_e32 v45, 0x889, v58
	v_fmac_f32_e32 v26, v46, v13
	v_mul_u32_u24_e32 v46, 0x889, v82
	v_mul_lo_u16 v1, v54, 60
	v_fma_f32 v27, v94, v5, -v2
	v_lshrrev_b32_e32 v56, 17, v45
	v_fmac_f32_e32 v28, v95, v5
	v_lshrrev_b32_e32 v127, 17, v46
	v_sub_nc_u16 v55, v81, v1
	s_delay_alu instid0(VALU_DEP_4) | instskip(NEXT) | instid1(VALU_DEP_2)
	v_mul_lo_u16 v2, v56, 60
	v_and_b32_e32 v1, 0xffff, v55
	s_delay_alu instid0(VALU_DEP_2) | instskip(SKIP_1) | instid1(VALU_DEP_3)
	v_sub_nc_u16 v126, v58, v2
	v_mul_lo_u16 v2, v127, 60
	v_lshlrev_b32_e32 v1, 3, v1
	s_delay_alu instid0(VALU_DEP_2) | instskip(NEXT) | instid1(VALU_DEP_4)
	v_sub_nc_u16 v128, v82, v2
	v_and_b32_e32 v2, 0xffff, v126
	global_load_b64 v[21:22], v1, s[10:11] offset:400
	v_lshlrev_b32_e32 v2, 3, v2
	global_load_b64 v[15:16], v2, s[10:11] offset:400
	scratch_store_b64 off, v[5:6], off offset:384 ; 8-byte Folded Spill
	v_mul_lo_u16 v5, v129, 60
	v_mul_lo_u16 v2, v133, 60
	s_delay_alu instid0(VALU_DEP_2) | instskip(SKIP_1) | instid1(VALU_DEP_3)
	v_sub_nc_u16 v130, v83, v5
	v_and_b32_e32 v5, 0xffff, v128
	v_sub_nc_u16 v134, v57, v2
	v_mul_lo_u16 v2, v135, 60
	s_delay_alu instid0(VALU_DEP_4) | instskip(NEXT) | instid1(VALU_DEP_4)
	v_and_b32_e32 v6, 0xffff, v130
	v_lshlrev_b32_e32 v5, 3, v5
	s_delay_alu instid0(VALU_DEP_3) | instskip(SKIP_1) | instid1(VALU_DEP_4)
	v_sub_nc_u16 v148, v170, v2
	v_and_b32_e32 v2, 0xffff, v134
	v_lshlrev_b32_e32 v6, 3, v6
	s_delay_alu instid0(VALU_DEP_2) | instskip(SKIP_4) | instid1(VALU_DEP_2)
	v_lshlrev_b32_e32 v2, 3, v2
	s_waitcnt vmcnt(1)
	scratch_store_b64 off, v[21:22], off offset:408 ; 8-byte Folded Spill
	v_mul_f32_e32 v1, v97, v22
	v_mul_f32_e32 v105, v96, v22
	v_fma_f32 v104, v96, v21, -v1
	s_delay_alu instid0(VALU_DEP_2)
	v_fmac_f32_e32 v105, v97, v21
	s_waitcnt vmcnt(0)
	scratch_store_b64 off, v[15:16], off offset:400 ; 8-byte Folded Spill
	s_clause 0x1
	global_load_b64 v[13:14], v5, s[10:11] offset:400
	global_load_b64 v[5:6], v6, s[10:11] offset:400
	ds_load_2addr_stride64_b64 v[94:97], v149 offset0:48 offset1:50
	s_clause 0x1
	scratch_store_b64 off, v[7:8], off offset:424
	scratch_store_b32 off, v30, off offset:484
	s_waitcnt lgkmcnt(0)
	v_mul_f32_e32 v1, v95, v16
	v_mul_f32_e32 v107, v94, v16
	s_delay_alu instid0(VALU_DEP_2) | instskip(NEXT) | instid1(VALU_DEP_2)
	v_fma_f32 v106, v94, v15, -v1
	v_fmac_f32_e32 v107, v95, v15
	s_waitcnt vmcnt(1)
	v_mul_f32_e32 v1, v97, v14
	v_mul_f32_e32 v113, v96, v14
	s_waitcnt vmcnt(0)
	s_clause 0x1
	scratch_store_b64 off, v[5:6], off offset:416
	scratch_store_b64 off, v[13:14], off offset:392
	v_fma_f32 v112, v96, v13, -v1
	v_fmac_f32_e32 v113, v97, v13
	ds_load_2addr_stride64_b64 v[94:97], v149 offset0:52 offset1:54
	v_mul_lo_u16 v1, v131, 60
	global_load_b64 v[13:14], v2, s[10:11] offset:400
	v_sub_nc_u16 v132, v0, v1
	s_waitcnt lgkmcnt(0)
	v_mul_f32_e32 v1, v95, v6
	v_mul_f32_e32 v115, v94, v6
	s_delay_alu instid0(VALU_DEP_2) | instskip(SKIP_1) | instid1(VALU_DEP_3)
	v_fma_f32 v114, v94, v5, -v1
	v_and_b32_e32 v1, 0xffff, v132
	v_fmac_f32_e32 v115, v95, v5
	v_and_b32_e32 v5, 0xffff, v148
	s_delay_alu instid0(VALU_DEP_3) | instskip(NEXT) | instid1(VALU_DEP_2)
	v_lshlrev_b32_e32 v1, 3, v1
	v_lshlrev_b32_e32 v5, 3, v5
	s_clause 0x1
	global_load_b64 v[15:16], v1, s[10:11] offset:400
	global_load_b64 v[5:6], v5, s[10:11] offset:400
	s_waitcnt vmcnt(2)
	scratch_store_b64 off, v[13:14], off offset:440 ; 8-byte Folded Spill
	s_waitcnt vmcnt(1)
	v_mul_f32_e32 v1, v97, v16
	v_mul_f32_e32 v121, v96, v16
	s_waitcnt vmcnt(0)
	s_clause 0x1
	scratch_store_b64 off, v[5:6], off offset:432
	scratch_store_b64 off, v[15:16], off offset:448
	v_fma_f32 v120, v96, v15, -v1
	v_fmac_f32_e32 v121, v97, v15
	ds_load_2addr_stride64_b64 v[94:97], v149 offset0:56 offset1:58
	s_waitcnt lgkmcnt(0)
	v_mul_f32_e32 v1, v95, v14
	v_mul_f32_e32 v123, v94, v14
	;; [unrolled: 1-line block ×3, first 2 shown]
	s_delay_alu instid0(VALU_DEP_3) | instskip(SKIP_1) | instid1(VALU_DEP_4)
	v_fma_f32 v122, v94, v13, -v1
	v_mul_f32_e32 v1, v97, v6
	v_fmac_f32_e32 v123, v95, v13
	s_delay_alu instid0(VALU_DEP_4) | instskip(NEXT) | instid1(VALU_DEP_3)
	v_fmac_f32_e32 v125, v97, v5
	v_fma_f32 v124, v96, v5, -v1
	ds_load_2addr_stride64_b64 v[94:97], v149 offset0:28 offset1:30
	s_waitcnt lgkmcnt(0)
	v_mul_f32_e32 v1, v97, v8
	v_mul_f32_e32 v2, v96, v8
	v_dual_sub_f32 v124, v94, v124 :: v_dual_sub_f32 v125, v95, v125
	s_delay_alu instid0(VALU_DEP_3) | instskip(NEXT) | instid1(VALU_DEP_3)
	v_fma_f32 v1, v96, v7, -v1
	v_fmac_f32_e32 v2, v97, v7
	ds_load_2addr_stride64_b64 v[96:99], v149 offset1:2
	v_fma_f32 v94, v94, 2.0, -v124
	v_fma_f32 v95, v95, 2.0, -v125
	s_waitcnt lgkmcnt(0)
	v_dual_sub_f32 v1, v96, v1 :: v_dual_sub_f32 v2, v97, v2
	v_dual_sub_f32 v3, v98, v3 :: v_dual_sub_f32 v4, v99, v4
	s_delay_alu instid0(VALU_DEP_2) | instskip(NEXT) | instid1(VALU_DEP_3)
	v_fma_f32 v5, v96, 2.0, -v1
	v_fma_f32 v6, v97, 2.0, -v2
	s_delay_alu instid0(VALU_DEP_3) | instskip(NEXT) | instid1(VALU_DEP_4)
	v_fma_f32 v7, v98, 2.0, -v3
	v_fma_f32 v8, v99, 2.0, -v4
	ds_load_2addr_stride64_b64 v[96:99], v149 offset0:4 offset1:6
	s_waitcnt lgkmcnt(0)
	v_dual_sub_f32 v9, v96, v9 :: v_dual_sub_f32 v10, v97, v10
	v_dual_sub_f32 v11, v98, v11 :: v_dual_sub_f32 v12, v99, v12
	s_delay_alu instid0(VALU_DEP_2) | instskip(NEXT) | instid1(VALU_DEP_3)
	v_fma_f32 v13, v96, 2.0, -v9
	v_fma_f32 v14, v97, 2.0, -v10
	s_delay_alu instid0(VALU_DEP_3) | instskip(NEXT) | instid1(VALU_DEP_4)
	v_fma_f32 v15, v98, 2.0, -v11
	v_fma_f32 v16, v99, 2.0, -v12
	ds_load_2addr_stride64_b64 v[96:99], v149 offset0:8 offset1:10
	;; [unrolled: 10-line block ×6, first 2 shown]
	s_waitcnt lgkmcnt(0)
	s_waitcnt_vscnt null, 0x0
	s_barrier
	buffer_gl0_inv
	ds_store_2addr_b64 v30, v[5:6], v[1:2] offset1:60
	v_and_b32_e32 v1, 0xffff, v53
	v_lshrrev_b16 v30, 14, v41
	s_delay_alu instid0(VALU_DEP_2) | instskip(NEXT) | instid1(VALU_DEP_1)
	v_mul_u32_u24_e32 v1, 0x78, v1
	v_add_lshl_u32 v1, v1, v93, 3
	scratch_store_b32 off, v1, off offset:480 ; 4-byte Folded Spill
	ds_store_2addr_b64 v1, v[7:8], v[3:4] offset1:60
	v_mad_u16 v1, 0x78, v42, v92
	v_dual_sub_f32 v120, v96, v120 :: v_dual_sub_f32 v121, v97, v121
	v_dual_sub_f32 v122, v98, v122 :: v_dual_sub_f32 v123, v99, v123
	s_delay_alu instid0(VALU_DEP_3) | instskip(NEXT) | instid1(VALU_DEP_3)
	v_and_b32_e32 v1, 0xffff, v1
	v_fma_f32 v96, v96, 2.0, -v120
	s_delay_alu instid0(VALU_DEP_4)
	v_fma_f32 v97, v97, 2.0, -v121
	v_mul_u32_u24_e32 v4, 0x223, v51
	v_fma_f32 v98, v98, 2.0, -v122
	v_lshlrev_b32_e32 v1, 3, v1
	v_fma_f32 v99, v99, 2.0, -v123
	scratch_store_b32 off, v1, off offset:476 ; 4-byte Folded Spill
	ds_store_2addr_b64 v1, v[13:14], v[9:10] offset1:60
	v_mad_u16 v1, 0x78, v29, v31
	s_delay_alu instid0(VALU_DEP_1) | instskip(NEXT) | instid1(VALU_DEP_1)
	v_and_b32_e32 v1, 0xffff, v1
	v_lshlrev_b32_e32 v1, 3, v1
	scratch_store_b32 off, v1, off offset:472 ; 4-byte Folded Spill
	ds_store_2addr_b64 v1, v[15:16], v[11:12] offset1:60
	v_mad_u16 v1, 0x78, v33, v34
	v_lshrrev_b32_e32 v33, 16, v32
	s_delay_alu instid0(VALU_DEP_2) | instskip(NEXT) | instid1(VALU_DEP_1)
	v_and_b32_e32 v1, 0xffff, v1
	v_lshlrev_b32_e32 v1, 3, v1
	scratch_store_b32 off, v1, off offset:468 ; 4-byte Folded Spill
	ds_store_2addr_b64 v1, v[21:22], v[17:18] offset1:60
	v_mad_u16 v1, 0x78, v35, v36
	v_lshrrev_b32_e32 v35, 17, v89
	s_delay_alu instid0(VALU_DEP_2) | instskip(NEXT) | instid1(VALU_DEP_1)
	;; [unrolled: 7-line block ×4, first 2 shown]
	v_and_b32_e32 v1, 0xffff, v1
	v_lshlrev_b32_e32 v1, 3, v1
	scratch_store_b32 off, v1, off offset:456 ; 4-byte Folded Spill
	ds_store_2addr_b64 v1, v[102:103], v[27:28] offset1:60
	v_mad_u16 v1, 0x78, v54, v55
	v_lshrrev_b32_e32 v28, 16, v4
	v_lshrrev_b32_e32 v54, 18, v43
	s_delay_alu instid0(VALU_DEP_3) | instskip(NEXT) | instid1(VALU_DEP_3)
	v_and_b32_e32 v1, 0xffff, v1
	v_mul_lo_u16 v4, 0x78, v28
	s_delay_alu instid0(VALU_DEP_2) | instskip(NEXT) | instid1(VALU_DEP_2)
	v_lshlrev_b32_e32 v1, 3, v1
	v_sub_nc_u16 v29, v51, v4
	v_mul_lo_u16 v4, 0x78, v30
	v_lshrrev_b32_e32 v51, 17, v88
	scratch_store_b32 off, v1, off offset:500 ; 4-byte Folded Spill
	ds_store_2addr_b64 v1, v[108:109], v[104:105] offset1:60
	v_mad_u16 v1, 0x78, v56, v126
	v_sub_nc_u16 v4, v52, v4
	v_lshrrev_b32_e32 v56, 18, v45
	s_delay_alu instid0(VALU_DEP_3) | instskip(NEXT) | instid1(VALU_DEP_3)
	v_and_b32_e32 v1, 0xffff, v1
	v_and_b32_e32 v31, 0xff, v4
	v_mul_lo_u16 v4, 0x78, v33
	s_delay_alu instid0(VALU_DEP_3) | instskip(NEXT) | instid1(VALU_DEP_2)
	v_lshlrev_b32_e32 v1, 3, v1
	v_sub_nc_u16 v34, v50, v4
	v_and_b32_e32 v4, 0xffff, v29
	scratch_store_b32 off, v1, off offset:496 ; 4-byte Folded Spill
	ds_store_2addr_b64 v1, v[110:111], v[106:107] offset1:60
	v_mad_u16 v1, 0x78, v127, v128
	v_and_b32_e32 v5, 0xffff, v34
	v_lshlrev_b32_e32 v4, 3, v4
	v_lshrrev_b32_e32 v127, 18, v47
	s_delay_alu instid0(VALU_DEP_4) | instskip(NEXT) | instid1(VALU_DEP_4)
	v_and_b32_e32 v1, 0xffff, v1
	v_lshlrev_b32_e32 v5, 3, v5
	s_delay_alu instid0(VALU_DEP_2) | instskip(SKIP_4) | instid1(VALU_DEP_2)
	v_lshlrev_b32_e32 v1, 3, v1
	scratch_store_b32 off, v1, off offset:492 ; 4-byte Folded Spill
	ds_store_2addr_b64 v1, v[116:117], v[112:113] offset1:60
	v_mad_u16 v1, 0x78, v129, v130
	v_lshrrev_b32_e32 v129, 18, v44
	v_and_b32_e32 v1, 0xffff, v1
	s_delay_alu instid0(VALU_DEP_1) | instskip(SKIP_4) | instid1(VALU_DEP_2)
	v_lshlrev_b32_e32 v1, 3, v1
	scratch_store_b32 off, v1, off offset:488 ; 4-byte Folded Spill
	ds_store_2addr_b64 v1, v[118:119], v[114:115] offset1:60
	v_mad_u16 v1, 0x78, v131, v132
	v_lshrrev_b32_e32 v131, 18, v48
	v_and_b32_e32 v1, 0xffff, v1
	s_delay_alu instid0(VALU_DEP_1) | instskip(SKIP_4) | instid1(VALU_DEP_2)
	v_lshlrev_b32_e32 v1, 3, v1
	scratch_store_b32 off, v1, off offset:504 ; 4-byte Folded Spill
	ds_store_2addr_b64 v1, v[96:97], v[120:121] offset1:60
	v_mad_u16 v1, 0x78, v133, v134
	v_lshrrev_b32_e32 v133, 18, v87
	v_and_b32_e32 v1, 0xffff, v1
	s_delay_alu instid0(VALU_DEP_1) | instskip(SKIP_3) | instid1(VALU_DEP_1)
	v_lshlrev_b32_e32 v1, 3, v1
	scratch_store_b32 off, v1, off offset:512 ; 4-byte Folded Spill
	ds_store_2addr_b64 v1, v[98:99], v[122:123] offset1:60
	v_mad_u16 v1, 0x78, v135, v148
	v_and_b32_e32 v1, 0xffff, v1
	s_delay_alu instid0(VALU_DEP_1) | instskip(SKIP_3) | instid1(VALU_DEP_1)
	v_lshlrev_b32_e32 v1, 3, v1
	scratch_store_b32 off, v1, off offset:508 ; 4-byte Folded Spill
	ds_store_2addr_b64 v1, v[94:95], v[124:125] offset1:60
	v_add_co_u32 v1, s8, 0xffffff88, v198
	v_add_co_ci_u32_e64 v2, null, 0, -1, s8
	s_waitcnt lgkmcnt(0)
	s_waitcnt_vscnt null, 0x0
	s_delay_alu instid0(VALU_DEP_2)
	v_cndmask_b32_e32 v1, v1, v198, vcc_lo
	s_barrier
	v_cndmask_b32_e64 v2, v2, 0, vcc_lo
	buffer_gl0_inv
	v_lshrrev_b32_e32 v125, 18, v46
	v_lshlrev_b64 v[2:3], 3, v[1:2]
	s_delay_alu instid0(VALU_DEP_1) | instskip(NEXT) | instid1(VALU_DEP_2)
	v_add_co_u32 v2, vcc_lo, s10, v2
	v_add_co_ci_u32_e32 v3, vcc_lo, s11, v3, vcc_lo
	s_clause 0x2
	global_load_b64 v[10:11], v4, s[10:11] offset:880
	global_load_b64 v[6:7], v5, s[10:11] offset:880
	global_load_b64 v[8:9], v[2:3], off offset:880
	v_lshlrev_b32_e32 v2, 3, v31
	ds_load_2addr_stride64_b64 v[92:95], v149 offset0:32 offset1:34
	v_mul_lo_u16 v3, 0x78, v37
	v_cmp_lt_u32_e32 vcc_lo, 0x77, v198
	global_load_b64 v[12:13], v2, s[10:11] offset:880
	v_sub_nc_u16 v38, v86, v3
	v_mul_lo_u16 v3, 0x78, v39
	v_cndmask_b32_e64 v135, 0, 0xf0, vcc_lo
	s_delay_alu instid0(VALU_DEP_2) | instskip(NEXT) | instid1(VALU_DEP_4)
	v_sub_nc_u16 v40, v84, v3
	v_and_b32_e32 v3, 0xffff, v38
	s_delay_alu instid0(VALU_DEP_3) | instskip(NEXT) | instid1(VALU_DEP_2)
	v_add_lshl_u32 v1, v1, v135, 3
	v_lshlrev_b32_e32 v3, 3, v3
	global_load_b64 v[16:17], v3, s[10:11] offset:880
	v_mul_lo_u16 v3, 0x78, v56
	s_delay_alu instid0(VALU_DEP_1) | instskip(SKIP_1) | instid1(VALU_DEP_1)
	v_sub_nc_u16 v124, v58, v3
	v_mul_lo_u16 v3, 0x78, v125
	v_sub_nc_u16 v126, v82, v3
	s_delay_alu instid0(VALU_DEP_3) | instskip(NEXT) | instid1(VALU_DEP_1)
	v_and_b32_e32 v3, 0xffff, v124
	v_lshlrev_b32_e32 v3, 3, v3
	s_waitcnt vmcnt(3)
	scratch_store_b64 off, v[6:7], off offset:532 ; 8-byte Folded Spill
	s_waitcnt vmcnt(1) lgkmcnt(0)
	v_mul_f32_e32 v2, v93, v13
	v_mul_f32_e32 v5, v92, v13
	scratch_store_b64 off, v[12:13], off offset:524 ; 8-byte Folded Spill
	v_fma_f32 v4, v92, v12, -v2
	v_fmac_f32_e32 v5, v93, v12
	v_dual_mov_b32 v13, v11 :: v_dual_mov_b32 v12, v10
	s_delay_alu instid0(VALU_DEP_1)
	v_mul_f32_e32 v2, v95, v13
	v_mul_f32_e32 v11, v94, v13
	scratch_store_b64 off, v[12:13], off offset:516 ; 8-byte Folded Spill
	v_fma_f32 v10, v94, v12, -v2
	v_fmac_f32_e32 v11, v95, v12
	ds_load_2addr_stride64_b64 v[92:95], v149 offset0:36 offset1:38
	v_mul_lo_u16 v2, 0x78, v35
	s_waitcnt vmcnt(0)
	scratch_store_b64 off, v[16:17], off offset:548 ; 8-byte Folded Spill
	v_sub_nc_u16 v36, v85, v2
	s_waitcnt lgkmcnt(0)
	v_mul_f32_e32 v2, v93, v7
	v_mul_f32_e32 v13, v92, v7
	s_delay_alu instid0(VALU_DEP_2) | instskip(NEXT) | instid1(VALU_DEP_2)
	v_fma_f32 v12, v92, v6, -v2
	v_dual_fmac_f32 v13, v93, v6 :: v_dual_and_b32 v2, 0xffff, v36
	v_mul_lo_u16 v6, 0x78, v51
	s_delay_alu instid0(VALU_DEP_2) | instskip(NEXT) | instid1(VALU_DEP_2)
	v_lshlrev_b32_e32 v2, 3, v2
	v_sub_nc_u16 v53, v49, v6
	v_and_b32_e32 v6, 0xffff, v40
	global_load_b64 v[20:21], v2, s[10:11] offset:880
	v_and_b32_e32 v7, 0xffff, v53
	v_lshlrev_b32_e32 v6, 3, v6
	s_delay_alu instid0(VALU_DEP_2)
	v_lshlrev_b32_e32 v7, 3, v7
	s_waitcnt vmcnt(0)
	scratch_store_b64 off, v[20:21], off offset:556 ; 8-byte Folded Spill
	s_clause 0x1
	global_load_b64 v[14:15], v6, s[10:11] offset:880
	global_load_b64 v[6:7], v7, s[10:11] offset:880
	v_mul_f32_e32 v2, v95, v21
	v_mul_f32_e32 v19, v94, v21
	s_delay_alu instid0(VALU_DEP_2) | instskip(NEXT) | instid1(VALU_DEP_2)
	v_fma_f32 v18, v94, v20, -v2
	v_fmac_f32_e32 v19, v95, v20
	ds_load_2addr_stride64_b64 v[92:95], v149 offset0:40 offset1:42
	s_waitcnt lgkmcnt(0)
	v_mul_f32_e32 v2, v93, v17
	v_mul_f32_e32 v21, v92, v17
	s_delay_alu instid0(VALU_DEP_2) | instskip(NEXT) | instid1(VALU_DEP_2)
	v_fma_f32 v20, v92, v16, -v2
	v_fmac_f32_e32 v21, v93, v16
	global_load_b64 v[16:17], v3, s[10:11] offset:880
	v_mul_lo_u16 v3, 0x78, v131
	s_delay_alu instid0(VALU_DEP_1) | instskip(SKIP_1) | instid1(VALU_DEP_1)
	v_sub_nc_u16 v132, v57, v3
	v_mul_lo_u16 v3, 0x78, v133
	v_sub_nc_u16 v134, v170, v3
	s_delay_alu instid0(VALU_DEP_3) | instskip(NEXT) | instid1(VALU_DEP_1)
	v_and_b32_e32 v3, 0xffff, v132
	v_lshlrev_b32_e32 v3, 3, v3
	s_waitcnt vmcnt(2)
	v_mul_f32_e32 v2, v95, v15
	v_mul_f32_e32 v27, v94, v15
	s_waitcnt vmcnt(1)
	s_clause 0x1
	scratch_store_b64 off, v[6:7], off offset:564
	scratch_store_b64 off, v[14:15], off offset:540
	v_fma_f32 v26, v94, v14, -v2
	v_fmac_f32_e32 v27, v95, v14
	ds_load_2addr_stride64_b64 v[92:95], v149 offset0:44 offset1:46
	v_mul_lo_u16 v2, 0x78, v54
	s_delay_alu instid0(VALU_DEP_1) | instskip(SKIP_3) | instid1(VALU_DEP_2)
	v_sub_nc_u16 v55, v81, v2
	s_waitcnt lgkmcnt(0)
	v_mul_f32_e32 v2, v93, v7
	v_mul_f32_e32 v42, v92, v7
	v_fma_f32 v41, v92, v6, -v2
	v_and_b32_e32 v2, 0xffff, v55
	s_delay_alu instid0(VALU_DEP_3)
	v_fmac_f32_e32 v42, v93, v6
	v_mul_lo_u16 v6, 0x78, v127
	s_waitcnt vmcnt(0)
	scratch_store_b64 off, v[16:17], off offset:612 ; 8-byte Folded Spill
	v_lshlrev_b32_e32 v2, 3, v2
	v_sub_nc_u16 v128, v83, v6
	v_and_b32_e32 v6, 0xffff, v126
	global_load_b64 v[22:23], v2, s[10:11] offset:880
	v_and_b32_e32 v7, 0xffff, v128
	v_lshlrev_b32_e32 v6, 3, v6
	s_delay_alu instid0(VALU_DEP_2)
	v_lshlrev_b32_e32 v7, 3, v7
	s_waitcnt vmcnt(0)
	scratch_store_b64 off, v[22:23], off offset:620 ; 8-byte Folded Spill
	s_clause 0x1
	global_load_b64 v[14:15], v6, s[10:11] offset:880
	global_load_b64 v[6:7], v7, s[10:11] offset:880
	v_mul_f32_e32 v2, v95, v23
	v_mul_f32_e32 v103, v94, v23
	s_delay_alu instid0(VALU_DEP_2) | instskip(NEXT) | instid1(VALU_DEP_2)
	v_fma_f32 v102, v94, v22, -v2
	v_fmac_f32_e32 v103, v95, v22
	ds_load_2addr_stride64_b64 v[92:95], v149 offset0:48 offset1:50
	s_waitcnt lgkmcnt(0)
	v_mul_f32_e32 v2, v93, v17
	v_mul_f32_e32 v105, v92, v17
	s_delay_alu instid0(VALU_DEP_2) | instskip(SKIP_1) | instid1(VALU_DEP_2)
	v_fma_f32 v104, v92, v16, -v2
	s_waitcnt vmcnt(1)
	v_dual_fmac_f32 v105, v93, v16 :: v_dual_mul_f32 v2, v95, v15
	v_mul_f32_e32 v111, v94, v15
	s_waitcnt vmcnt(0)
	s_clause 0x1
	scratch_store_b64 off, v[6:7], off offset:628
	scratch_store_b64 off, v[14:15], off offset:604
	v_fma_f32 v110, v94, v14, -v2
	v_fmac_f32_e32 v111, v95, v14
	ds_load_2addr_stride64_b64 v[92:95], v149 offset0:52 offset1:54
	v_mul_lo_u16 v2, 0x78, v129
	s_delay_alu instid0(VALU_DEP_1) | instskip(SKIP_3) | instid1(VALU_DEP_2)
	v_sub_nc_u16 v130, v0, v2
	s_waitcnt lgkmcnt(0)
	v_mul_f32_e32 v2, v93, v7
	v_mul_f32_e32 v113, v92, v7
	v_fma_f32 v112, v92, v6, -v2
	v_and_b32_e32 v2, 0xffff, v130
	s_delay_alu instid0(VALU_DEP_3) | instskip(SKIP_1) | instid1(VALU_DEP_3)
	v_fmac_f32_e32 v113, v93, v6
	v_and_b32_e32 v6, 0xffff, v134
	v_lshlrev_b32_e32 v2, 3, v2
	s_delay_alu instid0(VALU_DEP_2)
	v_lshlrev_b32_e32 v6, 3, v6
	s_clause 0x2
	global_load_b64 v[206:207], v2, s[10:11] offset:880
	global_load_b64 v[204:205], v3, s[10:11] offset:880
	;; [unrolled: 1-line block ×3, first 2 shown]
	s_clause 0x1
	scratch_store_b64 off, v[8:9], off offset:636
	scratch_store_b32 off, v1, off offset:668
	s_waitcnt vmcnt(2)
	v_mul_f32_e32 v2, v95, v207
	v_mul_f32_e32 v119, v94, v207
	s_delay_alu instid0(VALU_DEP_2) | instskip(NEXT) | instid1(VALU_DEP_2)
	v_fma_f32 v118, v94, v206, -v2
	v_fmac_f32_e32 v119, v95, v206
	ds_load_2addr_stride64_b64 v[92:95], v149 offset0:56 offset1:58
	s_waitcnt vmcnt(1) lgkmcnt(0)
	v_mul_f32_e32 v2, v93, v205
	v_mul_f32_e32 v121, v92, v205
	s_waitcnt vmcnt(0)
	v_mul_f32_e32 v123, v94, v203
	s_delay_alu instid0(VALU_DEP_3) | instskip(NEXT) | instid1(VALU_DEP_3)
	v_fma_f32 v120, v92, v204, -v2
	v_dual_mul_f32 v2, v95, v203 :: v_dual_fmac_f32 v121, v93, v204
	s_delay_alu instid0(VALU_DEP_3) | instskip(NEXT) | instid1(VALU_DEP_2)
	v_fmac_f32_e32 v123, v95, v202
	v_fma_f32 v122, v94, v202, -v2
	ds_load_2addr_stride64_b64 v[92:95], v149 offset0:28 offset1:30
	s_waitcnt lgkmcnt(0)
	v_mul_f32_e32 v2, v95, v9
	v_dual_mul_f32 v3, v94, v9 :: v_dual_sub_f32 v122, v92, v122
	v_sub_f32_e32 v123, v93, v123
	s_delay_alu instid0(VALU_DEP_3) | instskip(NEXT) | instid1(VALU_DEP_3)
	v_fma_f32 v2, v94, v8, -v2
	v_fmac_f32_e32 v3, v95, v8
	ds_load_2addr_stride64_b64 v[94:97], v149 offset1:2
	v_fma_f32 v92, v92, 2.0, -v122
	v_fma_f32 v93, v93, 2.0, -v123
	s_waitcnt lgkmcnt(0)
	v_dual_sub_f32 v2, v94, v2 :: v_dual_sub_f32 v3, v95, v3
	v_dual_sub_f32 v4, v96, v4 :: v_dual_sub_f32 v5, v97, v5
	s_delay_alu instid0(VALU_DEP_2) | instskip(NEXT) | instid1(VALU_DEP_3)
	v_fma_f32 v6, v94, 2.0, -v2
	v_fma_f32 v7, v95, 2.0, -v3
	s_delay_alu instid0(VALU_DEP_3) | instskip(NEXT) | instid1(VALU_DEP_4)
	v_fma_f32 v8, v96, 2.0, -v4
	v_fma_f32 v9, v97, 2.0, -v5
	ds_load_2addr_stride64_b64 v[94:97], v149 offset0:4 offset1:6
	s_waitcnt lgkmcnt(0)
	v_dual_sub_f32 v10, v94, v10 :: v_dual_sub_f32 v11, v95, v11
	v_dual_sub_f32 v12, v96, v12 :: v_dual_sub_f32 v13, v97, v13
	s_delay_alu instid0(VALU_DEP_2) | instskip(NEXT) | instid1(VALU_DEP_3)
	v_fma_f32 v14, v94, 2.0, -v10
	v_fma_f32 v15, v95, 2.0, -v11
	s_delay_alu instid0(VALU_DEP_3) | instskip(NEXT) | instid1(VALU_DEP_4)
	v_fma_f32 v16, v96, 2.0, -v12
	v_fma_f32 v17, v97, 2.0, -v13
	ds_load_2addr_stride64_b64 v[94:97], v149 offset0:8 offset1:10
	;; [unrolled: 10-line block ×6, first 2 shown]
	s_waitcnt lgkmcnt(0)
	s_waitcnt_vscnt null, 0x0
	s_barrier
	buffer_gl0_inv
	ds_store_2addr_b64 v1, v[6:7], v[2:3] offset1:120
	v_and_b32_e32 v1, 0xffff, v30
	s_delay_alu instid0(VALU_DEP_1) | instskip(NEXT) | instid1(VALU_DEP_1)
	v_mul_u32_u24_e32 v1, 0xf0, v1
	v_add_lshl_u32 v1, v1, v31, 3
	v_lshrrev_b32_e32 v31, 18, v90
	scratch_store_b32 off, v1, off offset:664 ; 4-byte Folded Spill
	ds_store_2addr_b64 v1, v[8:9], v[4:5] offset1:120
	v_mad_u16 v1, 0xf0, v28, v29
	v_dual_sub_f32 v118, v94, v118 :: v_dual_sub_f32 v119, v95, v119
	v_dual_sub_f32 v120, v96, v120 :: v_dual_sub_f32 v121, v97, v121
	s_delay_alu instid0(VALU_DEP_3) | instskip(NEXT) | instid1(VALU_DEP_3)
	v_and_b32_e32 v1, 0xffff, v1
	v_fma_f32 v94, v94, 2.0, -v118
	s_delay_alu instid0(VALU_DEP_4) | instskip(NEXT) | instid1(VALU_DEP_4)
	v_fma_f32 v95, v95, 2.0, -v119
	v_fma_f32 v96, v96, 2.0, -v120
	;; [unrolled: 1-line block ×3, first 2 shown]
	v_lshlrev_b32_e32 v1, 3, v1
	v_lshrrev_b32_e32 v29, 17, v32
	v_mul_lo_u16 v5, 0xf0, v31
	scratch_store_b32 off, v1, off offset:660 ; 4-byte Folded Spill
	ds_store_2addr_b64 v1, v[14:15], v[10:11] offset1:120
	v_mad_u16 v1, 0xf0, v33, v34
	v_mul_lo_u16 v3, 0xf0, v29
	v_lshrrev_b32_e32 v33, 18, v88
	v_sub_nc_u16 v32, v86, v5
	s_delay_alu instid0(VALU_DEP_4) | instskip(NEXT) | instid1(VALU_DEP_4)
	v_and_b32_e32 v1, 0xffff, v1
	v_sub_nc_u16 v30, v50, v3
	s_delay_alu instid0(VALU_DEP_4) | instskip(NEXT) | instid1(VALU_DEP_3)
	v_mul_lo_u16 v5, 0xf0, v33
	v_lshlrev_b32_e32 v1, 3, v1
	s_delay_alu instid0(VALU_DEP_2) | instskip(SKIP_3) | instid1(VALU_DEP_1)
	v_sub_nc_u16 v34, v49, v5
	scratch_store_b32 off, v1, off offset:656 ; 4-byte Folded Spill
	ds_store_2addr_b64 v1, v[16:17], v[12:13] offset1:120
	v_mad_u16 v1, 0xf0, v35, v36
	v_and_b32_e32 v1, 0xffff, v1
	s_delay_alu instid0(VALU_DEP_1) | instskip(SKIP_4) | instid1(VALU_DEP_2)
	v_lshlrev_b32_e32 v1, 3, v1
	scratch_store_b32 off, v1, off offset:652 ; 4-byte Folded Spill
	ds_store_2addr_b64 v1, v[22:23], v[18:19] offset1:120
	v_mad_u16 v1, 0xf0, v37, v38
	v_lshrrev_b32_e32 v38, 19, v45
	v_and_b32_e32 v1, 0xffff, v1
	s_delay_alu instid0(VALU_DEP_1) | instskip(SKIP_4) | instid1(VALU_DEP_2)
	v_lshlrev_b32_e32 v1, 3, v1
	scratch_store_b32 off, v1, off offset:648 ; 4-byte Folded Spill
	ds_store_2addr_b64 v1, v[24:25], v[20:21] offset1:120
	v_mad_u16 v1, 0xf0, v39, v40
	v_lshrrev_b32_e32 v40, 19, v47
	v_and_b32_e32 v1, 0xffff, v1
	s_delay_alu instid0(VALU_DEP_1) | instskip(SKIP_4) | instid1(VALU_DEP_2)
	v_lshlrev_b32_e32 v1, 3, v1
	scratch_store_b32 off, v1, off offset:644 ; 4-byte Folded Spill
	ds_store_2addr_b64 v1, v[98:99], v[26:27] offset1:120
	v_mad_u16 v1, 0xf0, v51, v53
	v_mov_b32_e32 v51, 0
	v_and_b32_e32 v1, 0xffff, v1
	s_delay_alu instid0(VALU_DEP_2) | instskip(NEXT) | instid1(VALU_DEP_2)
	v_mov_b32_e32 v53, v51
	v_lshlrev_b32_e32 v1, 3, v1
	s_delay_alu instid0(VALU_DEP_2) | instskip(SKIP_3) | instid1(VALU_DEP_1)
	v_cmp_gt_u64_e32 vcc_lo, 0xf0, v[52:53]
	scratch_store_b32 off, v1, off offset:600 ; 4-byte Folded Spill
	ds_store_2addr_b64 v1, v[100:101], v[41:42] offset1:120
	v_mad_u16 v1, 0xf0, v54, v55
	v_and_b32_e32 v1, 0xffff, v1
	s_delay_alu instid0(VALU_DEP_1) | instskip(SKIP_3) | instid1(VALU_DEP_1)
	v_lshlrev_b32_e32 v1, 3, v1
	scratch_store_b32 off, v1, off offset:596 ; 4-byte Folded Spill
	ds_store_2addr_b64 v1, v[106:107], v[102:103] offset1:120
	v_mad_u16 v1, 0xf0, v56, v124
	v_and_b32_e32 v1, 0xffff, v1
	s_delay_alu instid0(VALU_DEP_1) | instskip(SKIP_3) | instid1(VALU_DEP_1)
	v_lshlrev_b32_e32 v1, 3, v1
	;; [unrolled: 6-line block ×4, first 2 shown]
	scratch_store_b32 off, v1, off offset:584 ; 4-byte Folded Spill
	ds_store_2addr_b64 v1, v[116:117], v[112:113] offset1:120
	v_mad_u16 v1, 0xf0, v129, v130
	v_and_b32_e32 v1, 0xffff, v1
	s_delay_alu instid0(VALU_DEP_1) | instskip(SKIP_4) | instid1(VALU_DEP_2)
	v_lshlrev_b32_e32 v1, 3, v1
	scratch_store_b32 off, v1, off offset:580 ; 4-byte Folded Spill
	ds_store_2addr_b64 v1, v[94:95], v[118:119] offset1:120
	v_mad_u16 v1, 0xf0, v131, v132
	v_lshrrev_b32_e32 v119, 19, v48
	v_and_b32_e32 v1, 0xffff, v1
	s_delay_alu instid0(VALU_DEP_1) | instskip(SKIP_3) | instid1(VALU_DEP_1)
	v_lshlrev_b32_e32 v1, 3, v1
	scratch_store_b32 off, v1, off offset:576 ; 4-byte Folded Spill
	ds_store_2addr_b64 v1, v[96:97], v[120:121] offset1:120
	v_mad_u16 v1, 0xf0, v133, v134
	v_and_b32_e32 v1, 0xffff, v1
	s_delay_alu instid0(VALU_DEP_1) | instskip(SKIP_3) | instid1(VALU_DEP_1)
	v_lshlrev_b32_e32 v1, 3, v1
	scratch_store_b32 off, v1, off offset:572 ; 4-byte Folded Spill
	ds_store_2addr_b64 v1, v[92:93], v[122:123] offset1:120
	v_add_co_u32 v1, s8, 0xffffff90, v198
	v_add_co_ci_u32_e64 v2, null, 0, -1, s8
	s_waitcnt lgkmcnt(0)
	s_waitcnt_vscnt null, 0x0
	s_delay_alu instid0(VALU_DEP_2) | instskip(SKIP_4) | instid1(VALU_DEP_1)
	v_cndmask_b32_e32 v41, v1, v52, vcc_lo
	s_barrier
	v_cndmask_b32_e64 v42, v2, 0, vcc_lo
	buffer_gl0_inv
	v_lshlrev_b64 v[1:2], 3, v[41:42]
	v_add_co_u32 v1, vcc_lo, s10, v1
	s_delay_alu instid0(VALU_DEP_2)
	v_add_co_ci_u32_e32 v2, vcc_lo, s11, v2, vcc_lo
	v_cmp_lt_u64_e32 vcc_lo, 0xef, v[52:53]
	v_add_co_u32 v52, s8, s10, v149
	global_load_b64 v[208:209], v[1:2], off offset:1840
	v_and_b32_e32 v1, 0xffff, v30
	v_lshrrev_b32_e32 v2, 18, v91
	v_add_co_ci_u32_e64 v53, null, s11, 0, s8
	s_delay_alu instid0(VALU_DEP_3)
	v_lshlrev_b32_e32 v1, 3, v1
	s_clause 0x1
	global_load_b64 v[210:211], v1, s[10:11] offset:1840
	global_load_b64 v[212:213], v149, s[10:11] offset:1968
	ds_load_2addr_stride64_b64 v[92:95], v149 offset0:32 offset1:34
	v_mul_lo_u16 v2, 0xf0, v2
	global_load_b64 v[214:215], v149, s[10:11] offset:1840
	v_sub_nc_u16 v2, v84, v2
	s_delay_alu instid0(VALU_DEP_1) | instskip(NEXT) | instid1(VALU_DEP_1)
	v_and_b32_e32 v2, 0xffff, v2
	v_lshlrev_b32_e32 v36, 3, v2
	v_and_b32_e32 v2, 0xffff, v34
	s_waitcnt vmcnt(3) lgkmcnt(0)
	s_delay_alu instid0(VALU_DEP_1) | instskip(SKIP_1) | instid1(VALU_DEP_2)
	v_dual_mul_f32 v1, v93, v209 :: v_dual_lshlrev_b32 v2, 3, v2
	v_mul_f32_e32 v4, v92, v209
	v_fma_f32 v3, v92, v208, -v1
	s_waitcnt vmcnt(1)
	s_delay_alu instid0(VALU_DEP_2) | instskip(SKIP_1) | instid1(VALU_DEP_2)
	v_dual_fmac_f32 v4, v93, v208 :: v_dual_mul_f32 v1, v95, v213
	v_mul_f32_e32 v10, v94, v213
	v_fma_f32 v9, v94, v212, -v1
	v_lshrrev_b32_e32 v1, 18, v89
	ds_load_2addr_stride64_b64 v[89:92], v149 offset0:36 offset1:38
	v_fmac_f32_e32 v10, v95, v212
	v_mul_lo_u16 v1, 0xf0, v1
	s_delay_alu instid0(VALU_DEP_1) | instskip(NEXT) | instid1(VALU_DEP_1)
	v_sub_nc_u16 v1, v85, v1
	v_and_b32_e32 v1, 0xffff, v1
	s_delay_alu instid0(VALU_DEP_1) | instskip(SKIP_3) | instid1(VALU_DEP_2)
	v_lshlrev_b32_e32 v35, 3, v1
	v_and_b32_e32 v1, 0xffff, v32
	s_waitcnt lgkmcnt(0)
	v_mul_f32_e32 v5, v90, v211
	v_dual_mul_f32 v12, v89, v211 :: v_dual_lshlrev_b32 v1, 3, v1
	s_clause 0x3
	global_load_b64 v[216:217], v2, s[10:11] offset:1840
	global_load_b64 v[224:225], v1, s[10:11] offset:1840
	;; [unrolled: 1-line block ×4, first 2 shown]
	v_fma_f32 v11, v89, v210, -v5
	v_fmac_f32_e32 v12, v90, v210
	v_lshrrev_b32_e32 v2, 19, v46
	s_delay_alu instid0(VALU_DEP_1) | instskip(SKIP_3) | instid1(VALU_DEP_2)
	v_mul_lo_u16 v2, 0xf0, v2
	s_waitcnt vmcnt(1)
	v_mul_f32_e32 v1, v92, v233
	v_mul_f32_e32 v18, v91, v233
	v_fma_f32 v17, v91, v232, -v1
	s_delay_alu instid0(VALU_DEP_2)
	v_fmac_f32_e32 v18, v92, v232
	ds_load_2addr_stride64_b64 v[89:92], v149 offset0:40 offset1:42
	s_waitcnt lgkmcnt(0)
	v_mul_f32_e32 v1, v90, v225
	v_mul_f32_e32 v20, v89, v225
	s_waitcnt vmcnt(0)
	v_mul_f32_e32 v26, v91, v221
	s_delay_alu instid0(VALU_DEP_3) | instskip(NEXT) | instid1(VALU_DEP_3)
	v_fma_f32 v19, v89, v224, -v1
	v_dual_mul_f32 v1, v92, v221 :: v_dual_fmac_f32 v20, v90, v224
	s_delay_alu instid0(VALU_DEP_3) | instskip(NEXT) | instid1(VALU_DEP_2)
	v_fmac_f32_e32 v26, v92, v220
	v_fma_f32 v25, v91, v220, -v1
	v_lshrrev_b32_e32 v1, 19, v43
	ds_load_2addr_stride64_b64 v[89:92], v149 offset0:44 offset1:46
	v_mul_lo_u16 v1, 0xf0, v1
	s_delay_alu instid0(VALU_DEP_1) | instskip(NEXT) | instid1(VALU_DEP_1)
	v_sub_nc_u16 v1, v81, v1
	v_and_b32_e32 v1, 0xffff, v1
	s_delay_alu instid0(VALU_DEP_1)
	v_lshlrev_b32_e32 v37, 3, v1
	v_sub_nc_u16 v1, v82, v2
	v_mul_lo_u16 v2, 0xf0, v38
	s_waitcnt lgkmcnt(0)
	v_mul_f32_e32 v5, v90, v217
	v_mul_f32_e32 v28, v89, v217
	v_and_b32_e32 v1, 0xffff, v1
	v_sub_nc_u16 v39, v58, v2
	v_mul_lo_u16 v2, 0xf0, v40
	v_fma_f32 v27, v89, v216, -v5
	v_fmac_f32_e32 v28, v90, v216
	v_lshlrev_b32_e32 v54, 3, v1
	s_delay_alu instid0(VALU_DEP_4) | instskip(SKIP_1) | instid1(VALU_DEP_2)
	v_sub_nc_u16 v42, v83, v2
	v_and_b32_e32 v2, 0xffff, v39
	v_and_b32_e32 v5, 0xffff, v42
	s_delay_alu instid0(VALU_DEP_2) | instskip(NEXT) | instid1(VALU_DEP_2)
	v_lshlrev_b32_e32 v2, 3, v2
	v_lshlrev_b32_e32 v5, 3, v5
	s_clause 0x3
	global_load_b64 v[218:219], v5, s[10:11] offset:1840
	global_load_b64 v[230:231], v2, s[10:11] offset:1840
	;; [unrolled: 1-line block ×4, first 2 shown]
	v_lshrrev_b32_e32 v2, 19, v87
	v_mul_lo_u16 v5, 0xf0, v119
	s_delay_alu instid0(VALU_DEP_2) | instskip(NEXT) | instid1(VALU_DEP_2)
	v_mul_lo_u16 v2, 0xf0, v2
	v_sub_nc_u16 v120, v57, v5
	s_delay_alu instid0(VALU_DEP_2) | instskip(SKIP_3) | instid1(VALU_DEP_2)
	v_sub_nc_u16 v2, v170, v2
	s_waitcnt vmcnt(1)
	v_mul_f32_e32 v1, v92, v237
	v_mul_f32_e32 v56, v91, v237
	v_fma_f32 v55, v91, v236, -v1
	s_delay_alu instid0(VALU_DEP_2)
	v_fmac_f32_e32 v56, v92, v236
	ds_load_2addr_stride64_b64 v[89:92], v149 offset0:48 offset1:50
	s_waitcnt lgkmcnt(0)
	v_mul_f32_e32 v1, v90, v231
	v_mul_f32_e32 v100, v89, v231
	s_waitcnt vmcnt(0)
	v_mul_f32_e32 v106, v91, v229
	s_delay_alu instid0(VALU_DEP_3) | instskip(NEXT) | instid1(VALU_DEP_3)
	v_fma_f32 v86, v89, v230, -v1
	v_dual_mul_f32 v1, v92, v229 :: v_dual_fmac_f32 v100, v90, v230
	s_delay_alu instid0(VALU_DEP_3) | instskip(NEXT) | instid1(VALU_DEP_2)
	v_fmac_f32_e32 v106, v92, v228
	v_fma_f32 v105, v91, v228, -v1
	v_lshrrev_b32_e32 v1, 19, v44
	ds_load_2addr_stride64_b64 v[89:92], v149 offset0:52 offset1:54
	v_mul_lo_u16 v1, 0xf0, v1
	s_delay_alu instid0(VALU_DEP_1) | instskip(NEXT) | instid1(VALU_DEP_1)
	v_sub_nc_u16 v1, v0, v1
	v_and_b32_e32 v1, 0xffff, v1
	s_delay_alu instid0(VALU_DEP_1) | instskip(SKIP_4) | instid1(VALU_DEP_3)
	v_lshlrev_b32_e32 v121, 3, v1
	v_and_b32_e32 v1, 0xffff, v2
	s_waitcnt lgkmcnt(0)
	v_dual_mul_f32 v5, v90, v219 :: v_dual_and_b32 v2, 0xffff, v120
	v_mul_f32_e32 v108, v89, v219
	v_lshlrev_b32_e32 v122, 3, v1
	s_delay_alu instid0(VALU_DEP_3)
	v_lshlrev_b32_e32 v2, 3, v2
	s_clause 0x2
	global_load_b64 v[226:227], v2, s[10:11] offset:1840
	global_load_b64 v[234:235], v121, s[10:11] offset:1840
	;; [unrolled: 1-line block ×3, first 2 shown]
	v_fma_f32 v107, v89, v218, -v5
	s_waitcnt vmcnt(1)
	v_dual_fmac_f32 v108, v90, v218 :: v_dual_mul_f32 v1, v92, v235
	v_mul_f32_e32 v114, v91, v235
	s_delay_alu instid0(VALU_DEP_2) | instskip(NEXT) | instid1(VALU_DEP_2)
	v_fma_f32 v113, v91, v234, -v1
	v_fmac_f32_e32 v114, v92, v234
	ds_load_2addr_stride64_b64 v[89:92], v149 offset0:56 offset1:58
	s_waitcnt lgkmcnt(0)
	v_mul_f32_e32 v1, v90, v227
	v_mul_f32_e32 v116, v89, v227
	s_waitcnt vmcnt(0)
	v_mul_f32_e32 v118, v91, v223
	s_delay_alu instid0(VALU_DEP_3) | instskip(NEXT) | instid1(VALU_DEP_3)
	v_fma_f32 v115, v89, v226, -v1
	v_dual_mul_f32 v1, v92, v223 :: v_dual_fmac_f32 v116, v90, v226
	s_delay_alu instid0(VALU_DEP_3) | instskip(NEXT) | instid1(VALU_DEP_2)
	v_fmac_f32_e32 v118, v92, v222
	v_fma_f32 v117, v91, v222, -v1
	ds_load_2addr_stride64_b64 v[89:92], v149 offset0:28 offset1:30
	s_waitcnt lgkmcnt(0)
	v_mul_f32_e32 v1, v92, v215
	v_dual_mul_f32 v2, v91, v215 :: v_dual_sub_f32 v117, v89, v117
	v_sub_f32_e32 v118, v90, v118
	s_delay_alu instid0(VALU_DEP_3) | instskip(NEXT) | instid1(VALU_DEP_3)
	v_fma_f32 v1, v91, v214, -v1
	v_fmac_f32_e32 v2, v92, v214
	ds_load_2addr_stride64_b64 v[91:94], v149 offset1:2
	v_fma_f32 v89, v89, 2.0, -v117
	v_fma_f32 v90, v90, 2.0, -v118
	s_waitcnt lgkmcnt(0)
	v_dual_sub_f32 v1, v91, v1 :: v_dual_sub_f32 v2, v92, v2
	v_dual_sub_f32 v3, v93, v3 :: v_dual_sub_f32 v4, v94, v4
	s_delay_alu instid0(VALU_DEP_2) | instskip(NEXT) | instid1(VALU_DEP_3)
	v_fma_f32 v5, v91, 2.0, -v1
	v_fma_f32 v6, v92, 2.0, -v2
	s_delay_alu instid0(VALU_DEP_3) | instskip(NEXT) | instid1(VALU_DEP_4)
	v_fma_f32 v7, v93, 2.0, -v3
	v_fma_f32 v8, v94, 2.0, -v4
	ds_load_2addr_stride64_b64 v[91:94], v149 offset0:4 offset1:6
	s_waitcnt lgkmcnt(0)
	v_dual_sub_f32 v9, v91, v9 :: v_dual_sub_f32 v10, v92, v10
	v_dual_sub_f32 v11, v93, v11 :: v_dual_sub_f32 v12, v94, v12
	s_delay_alu instid0(VALU_DEP_2) | instskip(NEXT) | instid1(VALU_DEP_3)
	v_fma_f32 v13, v91, 2.0, -v9
	v_fma_f32 v14, v92, 2.0, -v10
	s_delay_alu instid0(VALU_DEP_3) | instskip(NEXT) | instid1(VALU_DEP_4)
	v_fma_f32 v15, v93, 2.0, -v11
	v_fma_f32 v16, v94, 2.0, -v12
	ds_load_2addr_stride64_b64 v[91:94], v149 offset0:8 offset1:10
	;; [unrolled: 10-line block ×6, first 2 shown]
	s_waitcnt lgkmcnt(0)
	s_barrier
	buffer_gl0_inv
	ds_store_2addr_b64 v149, v[5:6], v[1:2] offset1:240
	v_cndmask_b32_e64 v1, 0, 0x1e0, vcc_lo
	v_lshrrev_b32_e32 v6, 20, v46
	s_delay_alu instid0(VALU_DEP_2) | instskip(SKIP_1) | instid1(VALU_DEP_3)
	v_add_lshl_u32 v1, v1, v41, 3
	v_add_co_u32 v41, vcc_lo, 0x1000, v52
	v_mul_lo_u16 v6, 0x1e0, v6
	scratch_store_b32 off, v1, off offset:720 ; 4-byte Folded Spill
	ds_store_2addr_b64 v1, v[7:8], v[3:4] offset1:240
	v_add_nc_u32_e32 v1, 0xf80, v149
	v_sub_nc_u16 v6, v82, v6
	v_dual_sub_f32 v113, v91, v113 :: v_dual_sub_f32 v114, v92, v114
	ds_store_2addr_b64 v1, v[13:14], v[9:10] offset1:240
	v_mad_u16 v1, 0x1e0, v29, v30
	v_sub_f32_e32 v115, v93, v115
	v_fma_f32 v91, v91, 2.0, -v113
	v_fma_f32 v92, v92, 2.0, -v114
	s_delay_alu instid0(VALU_DEP_4) | instskip(NEXT) | instid1(VALU_DEP_4)
	v_dual_sub_f32 v116, v94, v116 :: v_dual_and_b32 v1, 0xffff, v1
	v_fma_f32 v93, v93, 2.0, -v115
	v_lshrrev_b32_e32 v30, 20, v47
	v_and_b32_e32 v6, 0xffff, v6
	s_delay_alu instid0(VALU_DEP_4) | instskip(SKIP_1) | instid1(VALU_DEP_4)
	v_fma_f32 v94, v94, 2.0, -v116
	v_lshlrev_b32_e32 v1, 3, v1
	v_mul_lo_u16 v7, 0x1e0, v30
	scratch_store_b32 off, v1, off offset:716 ; 4-byte Folded Spill
	ds_store_2addr_b64 v1, v[15:16], v[11:12] offset1:240
	v_add_nc_u32_e32 v1, 0x1e00, v35
	scratch_store_b32 off, v1, off offset:712 ; 4-byte Folded Spill
	ds_store_2addr_b64 v1, v[21:22], v[17:18] offset1:240
	v_mad_u16 v1, 0x1e0, v31, v32
	v_sub_nc_u16 v31, v83, v7
	s_delay_alu instid0(VALU_DEP_2) | instskip(NEXT) | instid1(VALU_DEP_1)
	v_and_b32_e32 v1, 0xffff, v1
	v_lshlrev_b32_e32 v1, 3, v1
	scratch_store_b32 off, v1, off offset:708 ; 4-byte Folded Spill
	ds_store_2addr_b64 v1, v[23:24], v[19:20] offset1:240
	v_add_nc_u32_e32 v1, 0x2d00, v36
	scratch_store_b32 off, v1, off offset:704 ; 4-byte Folded Spill
	ds_store_2addr_b64 v1, v[84:85], v[25:26] offset1:240
	v_mad_u16 v1, 0x1e0, v33, v34
	s_delay_alu instid0(VALU_DEP_1) | instskip(NEXT) | instid1(VALU_DEP_1)
	v_and_b32_e32 v1, 0xffff, v1
	v_lshlrev_b32_e32 v1, 3, v1
	scratch_store_b32 off, v1, off offset:700 ; 4-byte Folded Spill
	ds_store_2addr_b64 v1, v[95:96], v[27:28] offset1:240
	v_add_nc_u32_e32 v1, 0x3c00, v37
	v_lshrrev_b32_e32 v28, 19, v88
	scratch_store_b32 off, v1, off offset:696 ; 4-byte Folded Spill
	ds_store_2addr_b64 v1, v[101:102], v[97:98] offset1:240
	v_mad_u16 v1, 0x1e0, v38, v39
	s_delay_alu instid0(VALU_DEP_1) | instskip(NEXT) | instid1(VALU_DEP_1)
	v_and_b32_e32 v1, 0xffff, v1
	v_lshlrev_b32_e32 v1, 3, v1
	scratch_store_b32 off, v1, off offset:692 ; 4-byte Folded Spill
	ds_store_2addr_b64 v1, v[103:104], v[99:100] offset1:240
	v_add_nc_u32_e32 v1, 0x4b00, v54
	scratch_store_b32 off, v1, off offset:688 ; 4-byte Folded Spill
	ds_store_2addr_b64 v1, v[109:110], v[105:106] offset1:240
	v_mad_u16 v1, 0x1e0, v40, v42
	v_add_co_ci_u32_e32 v42, vcc_lo, 0, v53, vcc_lo
	v_cmp_gt_u64_e32 vcc_lo, 0x1e0, v[50:51]
	v_lshlrev_b32_e32 v109, 3, v6
	s_delay_alu instid0(VALU_DEP_4) | instskip(NEXT) | instid1(VALU_DEP_1)
	v_and_b32_e32 v1, 0xffff, v1
	v_lshlrev_b32_e32 v1, 3, v1
	scratch_store_b32 off, v1, off offset:684 ; 4-byte Folded Spill
	ds_store_2addr_b64 v1, v[111:112], v[107:108] offset1:240
	v_add_nc_u32_e32 v1, 0x5a00, v121
	scratch_store_b32 off, v1, off offset:680 ; 4-byte Folded Spill
	ds_store_2addr_b64 v1, v[91:92], v[113:114] offset1:240
	v_mad_u16 v1, 0x1e0, v119, v120
	s_delay_alu instid0(VALU_DEP_1) | instskip(NEXT) | instid1(VALU_DEP_1)
	v_and_b32_e32 v1, 0xffff, v1
	v_lshlrev_b32_e32 v1, 3, v1
	scratch_store_b32 off, v1, off offset:676 ; 4-byte Folded Spill
	ds_store_2addr_b64 v1, v[93:94], v[115:116] offset1:240
	v_add_nc_u32_e32 v1, 0x6900, v122
	scratch_store_b32 off, v1, off offset:672 ; 4-byte Folded Spill
	ds_store_2addr_b64 v1, v[89:90], v[117:118] offset1:240
	v_mul_lo_u16 v1, 0x1e0, v28
	s_waitcnt lgkmcnt(0)
	s_waitcnt_vscnt null, 0x0
	s_barrier
	buffer_gl0_inv
	s_clause 0x2
	global_load_b64 v[248:249], v[41:42], off offset:688
	global_load_b64 v[240:241], v[41:42], off offset:944
	global_load_b64 v[244:245], v149, s[10:11] offset:4016
	v_sub_nc_u16 v29, v49, v1
	ds_load_2addr_stride64_b64 v[88:91], v149 offset0:32 offset1:34
	v_and_b32_e32 v1, 0xffff, v29
	s_delay_alu instid0(VALU_DEP_1)
	v_lshlrev_b32_e32 v1, 3, v1
	s_clause 0x3
	global_load_b64 v[238:239], v1, s[10:11] offset:3760
	global_load_b64 v[246:247], v[41:42], off offset:1712
	global_load_b64 v[242:243], v[41:42], off offset:1968
	global_load_b64 v[252:253], v149, s[10:11] offset:3760
	s_waitcnt vmcnt(6) lgkmcnt(0)
	v_mul_f32_e32 v2, v89, v249
	v_mul_f32_e32 v5, v88, v249
	s_delay_alu instid0(VALU_DEP_2) | instskip(NEXT) | instid1(VALU_DEP_2)
	v_fma_f32 v4, v88, v248, -v2
	v_fmac_f32_e32 v5, v89, v248
	s_waitcnt vmcnt(2)
	v_mul_f32_e32 v1, v91, v247
	v_mul_f32_e32 v11, v90, v247
	s_delay_alu instid0(VALU_DEP_2) | instskip(SKIP_1) | instid1(VALU_DEP_1)
	v_fma_f32 v10, v90, v246, -v1
	v_add_co_u32 v1, s8, 0xffffffa0, v198
	v_add_co_ci_u32_e64 v2, null, 0, -1, s8
	s_delay_alu instid0(VALU_DEP_4) | instskip(NEXT) | instid1(VALU_DEP_3)
	v_fmac_f32_e32 v11, v91, v246
	v_cndmask_b32_e32 v1, v1, v50, vcc_lo
	ds_load_2addr_stride64_b64 v[88:91], v149 offset0:36 offset1:38
	v_cndmask_b32_e64 v2, v2, 0, vcc_lo
	s_delay_alu instid0(VALU_DEP_1) | instskip(NEXT) | instid1(VALU_DEP_1)
	v_lshlrev_b64 v[2:3], 3, v[1:2]
	v_add_co_u32 v2, vcc_lo, s10, v2
	s_delay_alu instid0(VALU_DEP_2) | instskip(SKIP_4) | instid1(VALU_DEP_2)
	v_add_co_ci_u32_e32 v3, vcc_lo, s11, v3, vcc_lo
	global_load_b64 v[250:251], v[2:3], off offset:3760
	s_waitcnt lgkmcnt(0)
	v_mul_f32_e32 v19, v90, v245
	v_lshrrev_b32_e32 v3, 20, v45
	v_fmac_f32_e32 v19, v91, v244
	s_delay_alu instid0(VALU_DEP_2) | instskip(NEXT) | instid1(VALU_DEP_1)
	v_mul_lo_u16 v3, 0x1e0, v3
	v_sub_nc_u16 v3, v58, v3
	s_delay_alu instid0(VALU_DEP_1) | instskip(NEXT) | instid1(VALU_DEP_1)
	v_and_b32_e32 v3, 0xffff, v3
	v_lshlrev_b32_e32 v110, 3, v3
	s_waitcnt vmcnt(0)
	v_mul_f32_e32 v2, v89, v251
	v_mul_f32_e32 v13, v88, v251
	s_delay_alu instid0(VALU_DEP_2) | instskip(NEXT) | instid1(VALU_DEP_2)
	v_fma_f32 v12, v88, v250, -v2
	v_dual_mul_f32 v2, v91, v245 :: v_dual_fmac_f32 v13, v89, v250
	s_delay_alu instid0(VALU_DEP_1)
	v_fma_f32 v18, v90, v244, -v2
	ds_load_2addr_stride64_b64 v[88:91], v149 offset0:40 offset1:42
	s_waitcnt lgkmcnt(0)
	v_mul_f32_e32 v2, v89, v241
	v_mul_f32_e32 v21, v88, v241
	;; [unrolled: 1-line block ×3, first 2 shown]
	s_delay_alu instid0(VALU_DEP_3) | instskip(NEXT) | instid1(VALU_DEP_3)
	v_fma_f32 v20, v88, v240, -v2
	v_dual_mul_f32 v2, v91, v243 :: v_dual_fmac_f32 v21, v89, v240
	s_delay_alu instid0(VALU_DEP_3) | instskip(NEXT) | instid1(VALU_DEP_2)
	v_fmac_f32_e32 v27, v91, v242
	v_fma_f32 v26, v90, v242, -v2
	v_lshrrev_b32_e32 v2, 20, v43
	s_delay_alu instid0(VALU_DEP_1) | instskip(NEXT) | instid1(VALU_DEP_1)
	v_mul_lo_u16 v2, 0x1e0, v2
	v_sub_nc_u16 v2, v81, v2
	ds_load_2addr_stride64_b64 v[81:84], v149 offset0:44 offset1:46
	v_and_b32_e32 v2, 0xffff, v2
	s_delay_alu instid0(VALU_DEP_1) | instskip(SKIP_1) | instid1(VALU_DEP_1)
	v_lshlrev_b32_e32 v111, 3, v2
	v_and_b32_e32 v2, 0xffff, v31
	v_lshlrev_b32_e32 v2, 3, v2
	s_clause 0x3
	global_load_b64 v[200:201], v2, s[10:11] offset:3760
	global_load_b64 v[190:191], v111, s[10:11] offset:3760
	;; [unrolled: 1-line block ×4, first 2 shown]
	s_waitcnt lgkmcnt(0)
	v_mul_f32_e32 v3, v82, v239
	v_mul_f32_e32 v33, v81, v239
	s_delay_alu instid0(VALU_DEP_2) | instskip(NEXT) | instid1(VALU_DEP_2)
	v_fma_f32 v32, v81, v238, -v3
	v_fmac_f32_e32 v33, v82, v238
	v_lshrrev_b32_e32 v3, 20, v87
	s_delay_alu instid0(VALU_DEP_1) | instskip(NEXT) | instid1(VALU_DEP_1)
	v_mul_lo_u16 v3, 0x1e0, v3
	v_sub_nc_u16 v3, v170, v3
	s_delay_alu instid0(VALU_DEP_1) | instskip(NEXT) | instid1(VALU_DEP_1)
	v_and_b32_e32 v3, 0xffff, v3
	v_lshlrev_b32_e32 v112, 3, v3
	s_waitcnt vmcnt(2)
	v_mul_f32_e32 v2, v84, v191
	v_mul_f32_e32 v35, v83, v191
	s_delay_alu instid0(VALU_DEP_2) | instskip(NEXT) | instid1(VALU_DEP_2)
	v_fma_f32 v34, v83, v190, -v2
	v_fmac_f32_e32 v35, v84, v190
	ds_load_2addr_stride64_b64 v[81:84], v149 offset0:48 offset1:50
	s_waitcnt vmcnt(1) lgkmcnt(0)
	v_mul_f32_e32 v2, v82, v178
	v_mul_f32_e32 v37, v81, v178
	s_waitcnt vmcnt(0)
	v_mul_f32_e32 v39, v83, v193
	s_delay_alu instid0(VALU_DEP_3) | instskip(SKIP_2) | instid1(VALU_DEP_4)
	v_fma_f32 v36, v81, v177, -v2
	v_mul_f32_e32 v2, v84, v193
	v_fmac_f32_e32 v37, v82, v177
	v_fmac_f32_e32 v39, v84, v192
	s_delay_alu instid0(VALU_DEP_3) | instskip(SKIP_3) | instid1(VALU_DEP_1)
	v_fma_f32 v38, v83, v192, -v2
	v_lshrrev_b32_e32 v2, 20, v44
	ds_load_2addr_stride64_b64 v[43:46], v149 offset0:52 offset1:54
	v_mul_lo_u16 v2, 0x1e0, v2
	v_sub_nc_u16 v0, v0, v2
	v_lshrrev_b32_e32 v2, 20, v48
	s_delay_alu instid0(VALU_DEP_2) | instskip(NEXT) | instid1(VALU_DEP_2)
	v_and_b32_e32 v0, 0xffff, v0
	v_mul_lo_u16 v2, 0x1e0, v2
	s_delay_alu instid0(VALU_DEP_2) | instskip(NEXT) | instid1(VALU_DEP_2)
	v_lshlrev_b32_e32 v114, 3, v0
	v_sub_nc_u16 v2, v57, v2
	s_waitcnt lgkmcnt(0)
	v_mul_f32_e32 v0, v44, v201
	v_mul_f32_e32 v40, v43, v201
	s_delay_alu instid0(VALU_DEP_3) | instskip(NEXT) | instid1(VALU_DEP_3)
	v_and_b32_e32 v2, 0xffff, v2
	v_fma_f32 v0, v43, v200, -v0
	s_delay_alu instid0(VALU_DEP_2)
	v_dual_fmac_f32 v40, v44, v200 :: v_dual_lshlrev_b32 v113, 3, v2
	s_clause 0x2
	global_load_b64 v[194:195], v114, s[10:11] offset:3760
	global_load_b64 v[179:180], v113, s[10:11] offset:3760
	;; [unrolled: 1-line block ×3, first 2 shown]
	s_waitcnt vmcnt(2)
	v_mul_f32_e32 v2, v46, v195
	v_mul_f32_e32 v55, v45, v195
	s_delay_alu instid0(VALU_DEP_2) | instskip(NEXT) | instid1(VALU_DEP_2)
	v_fma_f32 v54, v45, v194, -v2
	v_fmac_f32_e32 v55, v46, v194
	ds_load_2addr_stride64_b64 v[43:46], v149 offset0:56 offset1:58
	s_waitcnt vmcnt(1) lgkmcnt(0)
	v_mul_f32_e32 v2, v44, v180
	s_waitcnt vmcnt(0)
	v_dual_mul_f32 v57, v43, v180 :: v_dual_mul_f32 v108, v45, v189
	s_delay_alu instid0(VALU_DEP_2) | instskip(NEXT) | instid1(VALU_DEP_2)
	v_fma_f32 v56, v43, v179, -v2
	v_dual_mul_f32 v2, v46, v189 :: v_dual_fmac_f32 v57, v44, v179
	s_delay_alu instid0(VALU_DEP_3) | instskip(NEXT) | instid1(VALU_DEP_2)
	v_fmac_f32_e32 v108, v46, v188
	v_fma_f32 v58, v45, v188, -v2
	ds_load_2addr_stride64_b64 v[43:46], v149 offset0:28 offset1:30
	s_waitcnt lgkmcnt(0)
	v_mul_f32_e32 v2, v46, v253
	v_mul_f32_e32 v3, v45, v253
	v_dual_sub_f32 v107, v43, v58 :: v_dual_sub_f32 v108, v44, v108
	s_delay_alu instid0(VALU_DEP_3) | instskip(NEXT) | instid1(VALU_DEP_3)
	v_fma_f32 v2, v45, v252, -v2
	v_fmac_f32_e32 v3, v46, v252
	ds_load_2addr_stride64_b64 v[45:48], v149 offset1:2
	v_fma_f32 v43, v43, 2.0, -v107
	v_fma_f32 v44, v44, 2.0, -v108
	s_waitcnt lgkmcnt(0)
	v_dual_sub_f32 v2, v45, v2 :: v_dual_sub_f32 v3, v46, v3
	v_dual_sub_f32 v4, v47, v4 :: v_dual_sub_f32 v5, v48, v5
	s_delay_alu instid0(VALU_DEP_2) | instskip(NEXT) | instid1(VALU_DEP_3)
	v_fma_f32 v6, v45, 2.0, -v2
	v_fma_f32 v7, v46, 2.0, -v3
	s_delay_alu instid0(VALU_DEP_3) | instskip(NEXT) | instid1(VALU_DEP_4)
	v_fma_f32 v8, v47, 2.0, -v4
	v_fma_f32 v9, v48, 2.0, -v5
	ds_load_2addr_stride64_b64 v[45:48], v149 offset0:4 offset1:6
	s_waitcnt lgkmcnt(0)
	v_dual_sub_f32 v10, v45, v10 :: v_dual_sub_f32 v11, v46, v11
	v_dual_sub_f32 v12, v47, v12 :: v_dual_sub_f32 v13, v48, v13
	s_delay_alu instid0(VALU_DEP_2) | instskip(NEXT) | instid1(VALU_DEP_3)
	v_fma_f32 v14, v45, 2.0, -v10
	v_fma_f32 v15, v46, 2.0, -v11
	s_delay_alu instid0(VALU_DEP_3) | instskip(NEXT) | instid1(VALU_DEP_4)
	v_fma_f32 v16, v47, 2.0, -v12
	v_fma_f32 v17, v48, 2.0, -v13
	ds_load_2addr_stride64_b64 v[45:48], v149 offset0:8 offset1:10
	;; [unrolled: 10-line block ×5, first 2 shown]
	s_waitcnt lgkmcnt(0)
	v_dual_sub_f32 v95, v45, v38 :: v_dual_sub_f32 v96, v46, v39
	v_sub_f32_e32 v97, v47, v0
	v_sub_f32_e32 v98, v48, v40
	v_add_nc_u32_e32 v0, 0x800, v149
	v_cmp_lt_u64_e32 vcc_lo, 0x1df, v[50:51]
	v_fma_f32 v99, v45, 2.0, -v95
	v_fma_f32 v100, v46, 2.0, -v96
	;; [unrolled: 1-line block ×4, first 2 shown]
	ds_load_2addr_stride64_b64 v[45:48], v149 offset0:24 offset1:26
	s_waitcnt lgkmcnt(0)
	s_barrier
	buffer_gl0_inv
	ds_store_2addr_b64 v0, v[14:15], v[2:3] offset1:224
	v_add_nc_u32_e32 v0, 0x100, v149
	ds_store_2addr_stride64_b64 v149, v[6:7], v[8:9] offset1:2
	v_mov_b32_e32 v50, v51
	ds_store_2addr_stride64_b64 v0, v[4:5], v[10:11] offset0:9 offset1:11
	v_mov_b32_e32 v2, v0
	v_cndmask_b32_e64 v0, 0, 0x3c0, vcc_lo
	s_delay_alu instid0(VALU_DEP_1)
	v_add_lshl_u32 v0, v0, v1, 3
	v_dual_sub_f32 v103, v45, v54 :: v_dual_sub_f32 v104, v46, v55
	scratch_store_b32 off, v0, off offset:756 ; 4-byte Folded Spill
	ds_store_b64 v0, v[16:17]
	ds_store_b64 v0, v[12:13] offset:3840
	ds_store_2addr_stride64_b64 v2, v[22:23], v[24:25] offset0:15 offset1:17
	v_add_nc_u32_e32 v0, 0x2700, v149
	ds_store_2addr_b64 v0, v[83:84], v[18:19] offset1:224
	ds_store_2addr_stride64_b64 v149, v[20:21], v[26:27] offset0:25 offset1:27
	v_mad_u16 v0, 0x3c0, v28, v29
	v_dual_sub_f32 v105, v47, v56 :: v_dual_sub_f32 v106, v48, v57
	v_fma_f32 v45, v45, 2.0, -v103
	v_fma_f32 v46, v46, 2.0, -v104
	s_delay_alu instid0(VALU_DEP_4) | instskip(NEXT) | instid1(VALU_DEP_4)
	v_and_b32_e32 v0, 0xffff, v0
	v_fma_f32 v47, v47, 2.0, -v105
	v_fma_f32 v48, v48, 2.0, -v106
	s_delay_alu instid0(VALU_DEP_3)
	v_lshlrev_b32_e32 v0, 3, v0
	scratch_store_b32 off, v0, off offset:736 ; 4-byte Folded Spill
	ds_store_b64 v0, v[85:86]
	ds_store_b64 v0, v[81:82] offset:3840
	v_mad_u16 v0, 0x3c0, v30, v31
	scratch_store_b32 off, v111, off offset:732 ; 4-byte Folded Spill
	ds_store_b64 v111, v[91:92] offset:15360
	ds_store_b64 v111, v[87:88] offset:19200
	scratch_store_b32 off, v110, off offset:728 ; 4-byte Folded Spill
	ds_store_b64 v110, v[93:94] offset:15360
	ds_store_b64 v110, v[89:90] offset:19200
	v_and_b32_e32 v0, 0xffff, v0
	scratch_store_b32 off, v109, off offset:724 ; 4-byte Folded Spill
	ds_store_b64 v109, v[99:100] offset:15360
	ds_store_b64 v109, v[95:96] offset:19200
	v_lshlrev_b32_e32 v0, 3, v0
	scratch_store_b32 off, v0, off offset:752 ; 4-byte Folded Spill
	ds_store_b64 v0, v[101:102]
	ds_store_b64 v0, v[97:98] offset:3840
	v_add_co_u32 v0, vcc_lo, 0x2000, v52
	v_add_co_ci_u32_e32 v1, vcc_lo, 0, v53, vcc_lo
	scratch_store_b32 off, v114, off offset:748 ; 4-byte Folded Spill
	ds_store_b64 v114, v[45:46] offset:23040
	ds_store_b64 v114, v[103:104] offset:26880
	scratch_store_b32 off, v113, off offset:744 ; 4-byte Folded Spill
	ds_store_b64 v113, v[47:48] offset:23040
	ds_store_b64 v113, v[105:106] offset:26880
	;; [unrolled: 3-line block ×3, first 2 shown]
	s_waitcnt lgkmcnt(0)
	s_waitcnt_vscnt null, 0x0
	s_barrier
	buffer_gl0_inv
	s_clause 0x2
	global_load_b64 v[254:255], v[0:1], off offset:432
	global_load_b64 v[172:173], v[0:1], off offset:944
	;; [unrolled: 1-line block ×3, first 2 shown]
	ds_load_2addr_stride64_b64 v[43:46], v149 offset0:32 offset1:34
	s_clause 0x2
	global_load_b64 v[121:122], v[0:1], off offset:1456
	global_load_b64 v[174:175], v[0:1], off offset:2992
	;; [unrolled: 1-line block ×3, first 2 shown]
	s_waitcnt vmcnt(5) lgkmcnt(0)
	v_mul_f32_e32 v2, v44, v255
	v_mul_f32_e32 v7, v43, v255
	s_waitcnt vmcnt(2)
	v_mul_f32_e32 v13, v45, v122
	s_delay_alu instid0(VALU_DEP_3) | instskip(SKIP_2) | instid1(VALU_DEP_4)
	v_fma_f32 v6, v43, v254, -v2
	v_mul_f32_e32 v2, v46, v122
	v_fmac_f32_e32 v7, v44, v254
	v_fmac_f32_e32 v13, v46, v121
	s_delay_alu instid0(VALU_DEP_3)
	v_fma_f32 v12, v45, v121, -v2
	v_add_co_u32 v2, vcc_lo, 0x3000, v52
	v_add_co_ci_u32_e32 v3, vcc_lo, 0, v53, vcc_lo
	s_clause 0x3
	global_load_b64 v[115:116], v[0:1], off offset:2480
	global_load_b64 v[117:118], v[0:1], off offset:3504
	;; [unrolled: 1-line block ×4, first 2 shown]
	ds_load_2addr_stride64_b64 v[43:46], v149 offset0:36 offset1:38
	global_load_b64 v[113:114], v[2:3], off offset:432
	v_cmp_gt_u64_e32 vcc_lo, 0x3c0, v[49:50]
	s_waitcnt vmcnt(4) lgkmcnt(0)
	v_mul_f32_e32 v0, v44, v116
	v_mul_f32_e32 v15, v43, v116
	s_waitcnt vmcnt(3)
	v_mul_f32_e32 v21, v45, v118
	s_delay_alu instid0(VALU_DEP_3) | instskip(NEXT) | instid1(VALU_DEP_3)
	v_fma_f32 v14, v43, v115, -v0
	v_dual_mul_f32 v0, v46, v118 :: v_dual_fmac_f32 v15, v44, v115
	s_delay_alu instid0(VALU_DEP_3) | instskip(NEXT) | instid1(VALU_DEP_2)
	v_fmac_f32_e32 v21, v46, v117
	v_fma_f32 v20, v45, v117, -v0
	ds_load_2addr_stride64_b64 v[43:46], v149 offset0:40 offset1:42
	s_clause 0x1
	global_load_b64 v[109:110], v[2:3], off offset:1456
	global_load_b64 v[129:130], v[2:3], off offset:1968
	s_waitcnt vmcnt(2) lgkmcnt(0)
	v_mul_f32_e32 v0, v44, v114
	v_mul_f32_e32 v23, v43, v114
	s_delay_alu instid0(VALU_DEP_2) | instskip(SKIP_1) | instid1(VALU_DEP_2)
	v_fma_f32 v22, v43, v113, -v0
	s_waitcnt vmcnt(1)
	v_dual_fmac_f32 v23, v44, v113 :: v_dual_mul_f32 v0, v46, v110
	v_mul_f32_e32 v29, v45, v110
	s_delay_alu instid0(VALU_DEP_2) | instskip(SKIP_1) | instid1(VALU_DEP_1)
	v_fma_f32 v28, v45, v109, -v0
	v_add_co_u32 v0, s8, 0xffffffc0, v198
	v_add_co_ci_u32_e64 v1, null, 0, -1, s8
	s_delay_alu instid0(VALU_DEP_4) | instskip(NEXT) | instid1(VALU_DEP_3)
	v_fmac_f32_e32 v29, v46, v109
	v_cndmask_b32_e32 v0, v0, v49, vcc_lo
	s_delay_alu instid0(VALU_DEP_3) | instskip(NEXT) | instid1(VALU_DEP_1)
	v_cndmask_b32_e64 v1, v1, 0, vcc_lo
	v_lshlrev_b64 v[4:5], 3, v[0:1]
	s_delay_alu instid0(VALU_DEP_1) | instskip(NEXT) | instid1(VALU_DEP_2)
	v_add_co_u32 v1, vcc_lo, s10, v4
	v_add_co_ci_u32_e32 v5, vcc_lo, s11, v5, vcc_lo
	s_delay_alu instid0(VALU_DEP_2) | instskip(NEXT) | instid1(VALU_DEP_2)
	v_add_co_u32 v4, vcc_lo, 0x1000, v1
	v_add_co_ci_u32_e32 v5, vcc_lo, 0, v5, vcc_lo
	s_clause 0x1
	global_load_b64 v[107:108], v[4:5], off offset:3504
	global_load_b64 v[125:126], v[41:42], off offset:3504
	ds_load_2addr_stride64_b64 v[41:44], v149 offset0:44 offset1:46
	v_cmp_lt_u64_e32 vcc_lo, 0x3bf, v[49:50]
	s_waitcnt lgkmcnt(0)
	v_mul_f32_e32 v4, v44, v132
	v_mul_f32_e32 v32, v43, v132
	s_delay_alu instid0(VALU_DEP_2) | instskip(SKIP_1) | instid1(VALU_DEP_2)
	v_fma_f32 v31, v43, v131, -v4
	s_waitcnt vmcnt(1)
	v_dual_fmac_f32 v32, v44, v131 :: v_dual_mul_f32 v1, v42, v108
	v_mul_f32_e32 v30, v41, v108
	s_delay_alu instid0(VALU_DEP_2) | instskip(NEXT) | instid1(VALU_DEP_2)
	v_fma_f32 v1, v41, v107, -v1
	v_fmac_f32_e32 v30, v42, v107
	ds_load_2addr_stride64_b64 v[41:44], v149 offset0:48 offset1:50
	s_waitcnt lgkmcnt(0)
	v_mul_f32_e32 v4, v42, v173
	v_mul_f32_e32 v34, v41, v173
	v_mul_f32_e32 v36, v43, v171
	s_delay_alu instid0(VALU_DEP_3) | instskip(SKIP_1) | instid1(VALU_DEP_4)
	v_fma_f32 v33, v41, v172, -v4
	v_mul_f32_e32 v4, v44, v171
	v_fmac_f32_e32 v34, v42, v172
	s_delay_alu instid0(VALU_DEP_4) | instskip(NEXT) | instid1(VALU_DEP_3)
	v_fmac_f32_e32 v36, v44, v170
	v_fma_f32 v35, v43, v170, -v4
	ds_load_2addr_stride64_b64 v[41:44], v149 offset0:52 offset1:54
	s_waitcnt lgkmcnt(0)
	v_mul_f32_e32 v4, v42, v175
	v_mul_f32_e32 v38, v41, v175
	v_mul_f32_e32 v40, v43, v134
	s_delay_alu instid0(VALU_DEP_3) | instskip(SKIP_1) | instid1(VALU_DEP_4)
	v_fma_f32 v37, v41, v174, -v4
	v_mul_f32_e32 v4, v44, v134
	v_fmac_f32_e32 v38, v42, v174
	s_delay_alu instid0(VALU_DEP_4) | instskip(NEXT) | instid1(VALU_DEP_3)
	v_fmac_f32_e32 v40, v44, v133
	v_fma_f32 v39, v43, v133, -v4
	;; [unrolled: 12-line block ×3, first 2 shown]
	ds_load_2addr_stride64_b64 v[41:44], v149 offset0:28 offset1:30
	s_waitcnt vmcnt(0) lgkmcnt(0)
	v_mul_f32_e32 v4, v44, v126
	v_mul_f32_e32 v5, v43, v126
	v_dual_sub_f32 v119, v41, v55 :: v_dual_sub_f32 v120, v42, v56
	s_delay_alu instid0(VALU_DEP_3) | instskip(NEXT) | instid1(VALU_DEP_3)
	v_fma_f32 v4, v43, v125, -v4
	v_fmac_f32_e32 v5, v44, v125
	ds_load_2addr_stride64_b64 v[43:46], v149 offset1:2
	v_fma_f32 v41, v41, 2.0, -v119
	v_fma_f32 v42, v42, 2.0, -v120
	s_waitcnt lgkmcnt(0)
	v_dual_sub_f32 v4, v43, v4 :: v_dual_sub_f32 v5, v44, v5
	v_dual_sub_f32 v6, v45, v6 :: v_dual_sub_f32 v7, v46, v7
	s_delay_alu instid0(VALU_DEP_2) | instskip(NEXT) | instid1(VALU_DEP_3)
	v_fma_f32 v8, v43, 2.0, -v4
	v_fma_f32 v9, v44, 2.0, -v5
	s_delay_alu instid0(VALU_DEP_3) | instskip(NEXT) | instid1(VALU_DEP_4)
	v_fma_f32 v10, v45, 2.0, -v6
	v_fma_f32 v11, v46, 2.0, -v7
	ds_load_2addr_stride64_b64 v[43:46], v149 offset0:4 offset1:6
	s_waitcnt lgkmcnt(0)
	v_dual_sub_f32 v12, v43, v12 :: v_dual_sub_f32 v13, v44, v13
	v_dual_sub_f32 v14, v45, v14 :: v_dual_sub_f32 v15, v46, v15
	s_delay_alu instid0(VALU_DEP_2) | instskip(NEXT) | instid1(VALU_DEP_3)
	v_fma_f32 v16, v43, 2.0, -v12
	v_fma_f32 v17, v44, 2.0, -v13
	s_delay_alu instid0(VALU_DEP_3) | instskip(NEXT) | instid1(VALU_DEP_4)
	v_fma_f32 v18, v45, 2.0, -v14
	v_fma_f32 v19, v46, 2.0, -v15
	ds_load_2addr_stride64_b64 v[43:46], v149 offset0:8 offset1:10
	;; [unrolled: 10-line block ×3, first 2 shown]
	s_waitcnt lgkmcnt(0)
	v_dual_sub_f32 v47, v43, v28 :: v_dual_sub_f32 v48, v44, v29
	v_dual_sub_f32 v81, v45, v1 :: v_dual_sub_f32 v82, v46, v30
	v_cndmask_b32_e64 v1, 0, 0x780, vcc_lo
	s_delay_alu instid0(VALU_DEP_3) | instskip(NEXT) | instid1(VALU_DEP_4)
	v_fma_f32 v83, v43, 2.0, -v47
	v_fma_f32 v84, v44, 2.0, -v48
	s_delay_alu instid0(VALU_DEP_4)
	v_fma_f32 v85, v45, 2.0, -v81
	v_fma_f32 v86, v46, 2.0, -v82
	ds_load_2addr_stride64_b64 v[43:46], v149 offset0:16 offset1:18
	v_add_lshl_u32 v0, v1, v0, 3
	s_waitcnt lgkmcnt(0)
	v_dual_sub_f32 v87, v43, v31 :: v_dual_sub_f32 v88, v44, v32
	v_dual_sub_f32 v89, v45, v33 :: v_dual_sub_f32 v90, v46, v34
	s_delay_alu instid0(VALU_DEP_2) | instskip(NEXT) | instid1(VALU_DEP_3)
	v_fma_f32 v91, v43, 2.0, -v87
	v_fma_f32 v92, v44, 2.0, -v88
	s_delay_alu instid0(VALU_DEP_3) | instskip(NEXT) | instid1(VALU_DEP_4)
	v_fma_f32 v93, v45, 2.0, -v89
	v_fma_f32 v94, v46, 2.0, -v90
	ds_load_2addr_stride64_b64 v[43:46], v149 offset0:20 offset1:22
	s_waitcnt lgkmcnt(0)
	v_dual_sub_f32 v95, v43, v35 :: v_dual_sub_f32 v96, v44, v36
	v_dual_sub_f32 v97, v45, v37 :: v_dual_sub_f32 v98, v46, v38
	s_delay_alu instid0(VALU_DEP_2) | instskip(NEXT) | instid1(VALU_DEP_3)
	v_fma_f32 v99, v43, 2.0, -v95
	v_fma_f32 v100, v44, 2.0, -v96
	s_delay_alu instid0(VALU_DEP_3) | instskip(NEXT) | instid1(VALU_DEP_4)
	v_fma_f32 v101, v45, 2.0, -v97
	v_fma_f32 v102, v46, 2.0, -v98
	ds_load_2addr_stride64_b64 v[43:46], v149 offset0:24 offset1:26
	s_waitcnt lgkmcnt(0)
	s_barrier
	buffer_gl0_inv
	ds_store_2addr_stride64_b64 v149, v[6:7], v[12:13] offset0:17 offset1:19
	ds_store_2addr_stride64_b64 v149, v[14:15], v[20:21] offset0:21 offset1:23
	;; [unrolled: 1-line block ×3, first 2 shown]
	ds_store_2addr_stride64_b64 v149, v[8:9], v[10:11] offset1:2
	ds_store_2addr_stride64_b64 v149, v[16:17], v[18:19] offset0:4 offset1:6
	ds_store_2addr_stride64_b64 v149, v[24:25], v[26:27] offset0:8 offset1:10
	;; [unrolled: 1-line block ×3, first 2 shown]
	scratch_store_b32 off, v0, off offset:760 ; 4-byte Folded Spill
	v_dual_sub_f32 v105, v43, v39 :: v_dual_sub_f32 v106, v44, v40
	v_dual_sub_f32 v111, v45, v51 :: v_dual_sub_f32 v112, v46, v54
	s_delay_alu instid0(VALU_DEP_2) | instskip(NEXT) | instid1(VALU_DEP_3)
	v_fma_f32 v43, v43, 2.0, -v105
	v_fma_f32 v44, v44, 2.0, -v106
	s_delay_alu instid0(VALU_DEP_3) | instskip(NEXT) | instid1(VALU_DEP_4)
	v_fma_f32 v45, v45, 2.0, -v111
	v_fma_f32 v46, v46, 2.0, -v112
	ds_store_2addr_stride64_b64 v0, v[85:86], v[81:82] offset1:15
	ds_store_2addr_stride64_b64 v149, v[91:92], v[93:94] offset0:31 offset1:33
	ds_store_2addr_stride64_b64 v149, v[89:90], v[95:96] offset0:48 offset1:50
	;; [unrolled: 1-line block ×7, first 2 shown]
	v_add_co_u32 v0, vcc_lo, 0x4000, v52
	v_add_co_ci_u32_e32 v1, vcc_lo, 0, v53, vcc_lo
	s_waitcnt lgkmcnt(0)
	s_waitcnt_vscnt null, 0x0
	s_barrier
	buffer_gl0_inv
	s_clause 0x3
	global_load_b64 v[123:124], v[2:3], off offset:4016
	global_load_b64 v[119:120], v[0:1], off offset:944
	;; [unrolled: 1-line block ×4, first 2 shown]
	ds_load_2addr_stride64_b64 v[41:44], v149 offset0:32 offset1:34
	s_clause 0x1
	global_load_b64 v[81:82], v[0:1], off offset:2992
	global_load_b64 v[86:87], v[0:1], off offset:4016
	s_waitcnt vmcnt(5) lgkmcnt(0)
	v_mul_f32_e32 v2, v42, v124
	v_mul_f32_e32 v5, v41, v124
	s_waitcnt vmcnt(4)
	v_mul_f32_e32 v7, v43, v120
	s_delay_alu instid0(VALU_DEP_3) | instskip(NEXT) | instid1(VALU_DEP_3)
	v_fma_f32 v4, v41, v123, -v2
	v_dual_mul_f32 v2, v44, v120 :: v_dual_fmac_f32 v5, v42, v123
	s_delay_alu instid0(VALU_DEP_3) | instskip(NEXT) | instid1(VALU_DEP_2)
	v_fmac_f32_e32 v7, v44, v119
	v_fma_f32 v6, v43, v119, -v2
	v_add_co_u32 v2, vcc_lo, 0x5000, v52
	v_add_co_ci_u32_e32 v3, vcc_lo, 0, v53, vcc_lo
	ds_load_2addr_stride64_b64 v[41:44], v149 offset0:36 offset1:38
	s_clause 0x1
	global_load_b64 v[84:85], v[2:3], off offset:944
	global_load_b64 v[92:93], v[2:3], off offset:1968
	s_waitcnt vmcnt(5) lgkmcnt(0)
	v_mul_f32_e32 v0, v42, v128
	v_mul_f32_e32 v11, v41, v128
	s_waitcnt vmcnt(3)
	v_mul_f32_e32 v15, v43, v82
	s_delay_alu instid0(VALU_DEP_3) | instskip(NEXT) | instid1(VALU_DEP_3)
	v_fma_f32 v10, v41, v127, -v0
	v_dual_mul_f32 v0, v44, v82 :: v_dual_fmac_f32 v11, v42, v127
	s_delay_alu instid0(VALU_DEP_3) | instskip(NEXT) | instid1(VALU_DEP_2)
	v_fmac_f32_e32 v15, v44, v81
	v_fma_f32 v14, v43, v81, -v0
	ds_load_2addr_stride64_b64 v[41:44], v149 offset0:40 offset1:42
	s_clause 0x1
	global_load_b64 v[88:89], v[2:3], off offset:2992
	global_load_b64 v[90:91], v[2:3], off offset:4016
	s_waitcnt vmcnt(4) lgkmcnt(0)
	v_mul_f32_e32 v0, v42, v87
	v_mul_f32_e32 v19, v41, v87
	s_delay_alu instid0(VALU_DEP_2) | instskip(SKIP_1) | instid1(VALU_DEP_2)
	v_fma_f32 v18, v41, v86, -v0
	s_waitcnt vmcnt(3)
	v_dual_fmac_f32 v19, v42, v86 :: v_dual_mul_f32 v0, v44, v85
	v_mul_f32_e32 v23, v43, v85
	s_delay_alu instid0(VALU_DEP_2) | instskip(SKIP_2) | instid1(VALU_DEP_4)
	v_fma_f32 v22, v43, v84, -v0
	v_add_co_u32 v0, vcc_lo, 0x6000, v52
	v_add_co_ci_u32_e32 v1, vcc_lo, 0, v53, vcc_lo
	v_fmac_f32_e32 v23, v44, v84
	ds_load_2addr_stride64_b64 v[41:44], v149 offset0:44 offset1:46
	s_clause 0x1
	global_load_b64 v[94:95], v[0:1], off offset:944
	global_load_b64 v[98:99], v[0:1], off offset:1968
	s_waitcnt vmcnt(4) lgkmcnt(0)
	v_mul_f32_e32 v2, v42, v93
	v_mul_f32_e32 v27, v41, v93
	s_waitcnt vmcnt(3)
	v_mul_f32_e32 v35, v43, v89
	s_delay_alu instid0(VALU_DEP_3) | instskip(NEXT) | instid1(VALU_DEP_3)
	v_fma_f32 v26, v41, v92, -v2
	v_dual_mul_f32 v2, v44, v89 :: v_dual_fmac_f32 v27, v42, v92
	s_delay_alu instid0(VALU_DEP_3) | instskip(NEXT) | instid1(VALU_DEP_2)
	v_fmac_f32_e32 v35, v44, v88
	v_fma_f32 v34, v43, v88, -v2
	ds_load_2addr_stride64_b64 v[41:44], v149 offset0:48 offset1:50
	s_waitcnt vmcnt(2) lgkmcnt(0)
	v_mul_f32_e32 v2, v42, v91
	v_mul_f32_e32 v39, v41, v91
	s_delay_alu instid0(VALU_DEP_2) | instskip(SKIP_1) | instid1(VALU_DEP_2)
	v_fma_f32 v38, v41, v90, -v2
	s_waitcnt vmcnt(1)
	v_dual_fmac_f32 v39, v42, v90 :: v_dual_mul_f32 v2, v44, v95
	v_mul_f32_e32 v135, v43, v95
	s_delay_alu instid0(VALU_DEP_2)
	v_fma_f32 v40, v43, v94, -v2
	v_add_co_u32 v2, vcc_lo, 0x7000, v52
	v_add_co_ci_u32_e32 v3, vcc_lo, 0, v53, vcc_lo
	s_clause 0x2
	global_load_b64 v[96:97], v[0:1], off offset:2992
	global_load_b64 v[100:101], v[0:1], off offset:4016
	;; [unrolled: 1-line block ×3, first 2 shown]
	v_fmac_f32_e32 v135, v44, v94
	ds_load_2addr_stride64_b64 v[41:44], v149 offset0:52 offset1:54
	s_waitcnt vmcnt(3) lgkmcnt(0)
	v_mul_f32_e32 v0, v42, v99
	v_mul_f32_e32 v3, v41, v99
	s_delay_alu instid0(VALU_DEP_2) | instskip(SKIP_1) | instid1(VALU_DEP_2)
	v_fma_f32 v2, v41, v98, -v0
	s_waitcnt vmcnt(2)
	v_dual_fmac_f32 v3, v42, v98 :: v_dual_mul_f32 v0, v44, v97
	v_mul_f32_e32 v176, v43, v97
	s_delay_alu instid0(VALU_DEP_2) | instskip(NEXT) | instid1(VALU_DEP_2)
	v_fma_f32 v148, v43, v96, -v0
	v_fmac_f32_e32 v176, v44, v96
	ds_load_2addr_stride64_b64 v[41:44], v149 offset0:56 offset1:58
	s_waitcnt vmcnt(1) lgkmcnt(0)
	v_mul_f32_e32 v0, v42, v101
	v_mul_f32_e32 v197, v41, v101
	s_waitcnt vmcnt(0)
	v_mul_f32_e32 v199, v43, v103
	s_delay_alu instid0(VALU_DEP_3) | instskip(NEXT) | instid1(VALU_DEP_3)
	v_fma_f32 v183, v41, v100, -v0
	v_dual_mul_f32 v0, v44, v103 :: v_dual_fmac_f32 v197, v42, v100
	s_delay_alu instid0(VALU_DEP_3) | instskip(NEXT) | instid1(VALU_DEP_2)
	v_fmac_f32_e32 v199, v44, v102
	v_fma_f32 v196, v43, v102, -v0
	ds_load_2addr_stride64_b64 v[41:44], v149 offset0:28 offset1:30
	s_waitcnt lgkmcnt(0)
	v_mul_f32_e32 v0, v44, v112
	v_mul_f32_e32 v1, v43, v112
	s_delay_alu instid0(VALU_DEP_2) | instskip(NEXT) | instid1(VALU_DEP_2)
	v_fma_f32 v0, v43, v111, -v0
	v_fmac_f32_e32 v1, v44, v111
	ds_load_2addr_stride64_b64 v[43:46], v149 offset1:2
	s_waitcnt lgkmcnt(0)
	v_dual_sub_f32 v20, v43, v0 :: v_dual_sub_f32 v21, v44, v1
	v_dual_sub_f32 v12, v45, v4 :: v_dual_sub_f32 v13, v46, v5
	s_delay_alu instid0(VALU_DEP_2) | instskip(NEXT) | instid1(VALU_DEP_3)
	v_fma_f32 v55, v43, 2.0, -v20
	v_fma_f32 v56, v44, 2.0, -v21
	s_delay_alu instid0(VALU_DEP_3) | instskip(NEXT) | instid1(VALU_DEP_4)
	v_fma_f32 v53, v45, 2.0, -v12
	v_fma_f32 v54, v46, 2.0, -v13
	ds_load_2addr_stride64_b64 v[43:46], v149 offset0:4 offset1:6
	s_waitcnt lgkmcnt(0)
	v_dual_sub_f32 v8, v43, v6 :: v_dual_sub_f32 v9, v44, v7
	v_dual_sub_f32 v10, v45, v10 :: v_dual_sub_f32 v11, v46, v11
	s_delay_alu instid0(VALU_DEP_2) | instskip(NEXT) | instid1(VALU_DEP_3)
	v_fma_f32 v36, v43, 2.0, -v8
	v_fma_f32 v37, v44, 2.0, -v9
	s_delay_alu instid0(VALU_DEP_3) | instskip(NEXT) | instid1(VALU_DEP_4)
	v_fma_f32 v32, v45, 2.0, -v10
	v_fma_f32 v33, v46, 2.0, -v11
	ds_load_2addr_stride64_b64 v[43:46], v149 offset0:8 offset1:10
	;; [unrolled: 10-line block ×5, first 2 shown]
	s_waitcnt lgkmcnt(0)
	v_dual_sub_f32 v0, v43, v40 :: v_dual_sub_f32 v1, v44, v135
	v_dual_sub_f32 v6, v45, v2 :: v_dual_sub_f32 v7, v46, v3
	v_sub_f32_e32 v2, v41, v196
	s_delay_alu instid0(VALU_DEP_3) | instskip(NEXT) | instid1(VALU_DEP_4)
	v_fma_f32 v34, v43, 2.0, -v0
	v_fma_f32 v35, v44, 2.0, -v1
	s_delay_alu instid0(VALU_DEP_4) | instskip(SKIP_4) | instid1(VALU_DEP_2)
	v_fma_f32 v14, v45, 2.0, -v6
	v_fma_f32 v15, v46, 2.0, -v7
	ds_load_2addr_stride64_b64 v[43:46], v149 offset0:24 offset1:26
	v_sub_f32_e32 v3, v42, v199
	v_fma_f32 v40, v41, 2.0, -v2
	v_fma_f32 v41, v42, 2.0, -v3
	s_waitcnt lgkmcnt(0)
	v_sub_f32_e32 v38, v43, v148
	v_dual_sub_f32 v39, v44, v176 :: v_dual_sub_f32 v4, v45, v183
	v_sub_f32_e32 v5, v46, v197
	s_delay_alu instid0(VALU_DEP_3) | instskip(NEXT) | instid1(VALU_DEP_3)
	v_fma_f32 v43, v43, 2.0, -v38
	v_fma_f32 v44, v44, 2.0, -v39
	s_delay_alu instid0(VALU_DEP_4) | instskip(NEXT) | instid1(VALU_DEP_4)
	v_fma_f32 v45, v45, 2.0, -v4
	v_fma_f32 v46, v46, 2.0, -v5
	ds_store_2addr_stride64_b64 v149, v[12:13], v[8:9] offset0:32 offset1:34
	ds_store_2addr_stride64_b64 v149, v[10:11], v[16:17] offset0:36 offset1:38
	;; [unrolled: 1-line block ×7, first 2 shown]
	ds_store_2addr_stride64_b64 v149, v[55:56], v[53:54] offset1:2
	ds_store_2addr_stride64_b64 v149, v[36:37], v[32:33] offset0:4 offset1:6
	ds_store_2addr_stride64_b64 v149, v[30:31], v[28:29] offset0:8 offset1:10
	;; [unrolled: 1-line block ×7, first 2 shown]
	s_waitcnt lgkmcnt(0)
	s_barrier
	buffer_gl0_inv
	s_clause 0x2
	global_load_b64 v[0:1], v149, s[2:3]
	global_load_b64 v[2:3], v149, s[2:3] offset:1024
	global_load_b64 v[4:5], v149, s[2:3] offset:2048
	ds_load_2addr_stride64_b64 v[41:44], v149 offset1:2
	s_waitcnt vmcnt(2) lgkmcnt(0)
	v_mul_f32_e32 v6, v42, v1
	v_mul_f32_e32 v7, v41, v1
	s_waitcnt vmcnt(1)
	v_mul_f32_e32 v1, v43, v3
	s_delay_alu instid0(VALU_DEP_3) | instskip(NEXT) | instid1(VALU_DEP_3)
	v_fma_f32 v6, v41, v0, -v6
	v_dual_fmac_f32 v7, v42, v0 :: v_dual_mul_f32 v0, v44, v3
	s_delay_alu instid0(VALU_DEP_3) | instskip(NEXT) | instid1(VALU_DEP_2)
	v_fmac_f32_e32 v1, v44, v2
	v_fma_f32 v0, v43, v2, -v0
	scratch_load_b32 v2, off, off offset:260 ; 4-byte Folded Reload
	s_waitcnt vmcnt(0)
	s_clause 0x2
	global_load_b64 v[2:3], v2, s[2:3]
	global_load_b64 v[8:9], v61, s[2:3]
	;; [unrolled: 1-line block ×3, first 2 shown]
	ds_load_2addr_stride64_b64 v[41:44], v149 offset0:12 offset1:14
	s_waitcnt vmcnt(2) lgkmcnt(0)
	v_mul_f32_e32 v12, v42, v3
	v_mul_f32_e32 v13, v41, v3
	s_delay_alu instid0(VALU_DEP_2) | instskip(NEXT) | instid1(VALU_DEP_2)
	v_fma_f32 v12, v41, v2, -v12
	v_fmac_f32_e32 v13, v42, v2
	scratch_load_b32 v2, off, off offset:252 ; 4-byte Folded Reload
	s_waitcnt vmcnt(0)
	s_clause 0x2
	global_load_b64 v[2:3], v2, s[2:3]
	global_load_b64 v[14:15], v60, s[2:3]
	;; [unrolled: 1-line block ×3, first 2 shown]
	s_waitcnt vmcnt(2)
	v_mul_f32_e32 v18, v44, v3
	v_mul_f32_e32 v19, v43, v3
	s_delay_alu instid0(VALU_DEP_2) | instskip(NEXT) | instid1(VALU_DEP_2)
	v_fma_f32 v18, v43, v2, -v18
	v_fmac_f32_e32 v19, v44, v2
	scratch_load_b32 v2, off, off offset:256 ; 4-byte Folded Reload
	ds_load_2addr_stride64_b64 v[41:44], v149 offset0:24 offset1:26
	s_waitcnt vmcnt(0)
	global_load_b64 v[2:3], v2, s[2:3]
	s_waitcnt vmcnt(0) lgkmcnt(0)
	v_mul_f32_e32 v20, v42, v3
	v_mul_f32_e32 v21, v41, v3
	s_delay_alu instid0(VALU_DEP_2) | instskip(NEXT) | instid1(VALU_DEP_2)
	v_fma_f32 v20, v41, v2, -v20
	v_fmac_f32_e32 v21, v42, v2
	scratch_load_b32 v2, off, off offset:248 ; 4-byte Folded Reload
	s_waitcnt vmcnt(0)
	global_load_b64 v[2:3], v2, s[2:3]
	s_waitcnt vmcnt(0)
	v_mul_f32_e32 v22, v44, v3
	v_mul_f32_e32 v23, v43, v3
	s_delay_alu instid0(VALU_DEP_2) | instskip(NEXT) | instid1(VALU_DEP_2)
	v_fma_f32 v22, v43, v2, -v22
	v_fmac_f32_e32 v23, v44, v2
	v_or_b32_e32 v2, 0x4800, v149
	s_clause 0x2
	global_load_b64 v[2:3], v2, s[2:3]
	global_load_b64 v[24:25], v59, s[2:3]
	global_load_b64 v[26:27], v74, s[2:3]
	ds_load_2addr_stride64_b64 v[41:44], v149 offset0:36 offset1:38
	s_waitcnt vmcnt(2) lgkmcnt(0)
	v_mul_f32_e32 v28, v42, v3
	v_mul_f32_e32 v29, v41, v3
	s_delay_alu instid0(VALU_DEP_2) | instskip(NEXT) | instid1(VALU_DEP_2)
	v_fma_f32 v28, v41, v2, -v28
	v_fmac_f32_e32 v29, v42, v2
	v_or_b32_e32 v2, 0x4c00, v149
	s_clause 0x2
	global_load_b64 v[2:3], v2, s[2:3]
	global_load_b64 v[30:31], v76, s[2:3]
	;; [unrolled: 1-line block ×3, first 2 shown]
	s_waitcnt vmcnt(2)
	v_mul_f32_e32 v34, v44, v3
	v_mul_f32_e32 v35, v43, v3
	s_delay_alu instid0(VALU_DEP_2) | instskip(NEXT) | instid1(VALU_DEP_2)
	v_fma_f32 v34, v43, v2, -v34
	v_fmac_f32_e32 v35, v44, v2
	v_or_b32_e32 v2, 0x6000, v149
	ds_load_2addr_stride64_b64 v[41:44], v149 offset0:48 offset1:50
	global_load_b64 v[2:3], v2, s[2:3]
	s_waitcnt vmcnt(0) lgkmcnt(0)
	v_mul_f32_e32 v36, v42, v3
	v_mul_f32_e32 v37, v41, v3
	s_delay_alu instid0(VALU_DEP_2) | instskip(NEXT) | instid1(VALU_DEP_2)
	v_fma_f32 v36, v41, v2, -v36
	v_fmac_f32_e32 v37, v42, v2
	v_or_b32_e32 v2, 0x6400, v149
	global_load_b64 v[2:3], v2, s[2:3]
	s_waitcnt vmcnt(0)
	v_mul_f32_e32 v38, v44, v3
	v_mul_f32_e32 v39, v43, v3
	s_delay_alu instid0(VALU_DEP_2) | instskip(NEXT) | instid1(VALU_DEP_2)
	v_fma_f32 v38, v43, v2, -v38
	v_fmac_f32_e32 v39, v44, v2
	global_load_b64 v[2:3], v149, s[2:3] offset:3072
	ds_load_2addr_stride64_b64 v[41:44], v149 offset0:4 offset1:6
	s_waitcnt vmcnt(0) lgkmcnt(0)
	v_mul_f32_e32 v40, v44, v3
	v_dual_mul_f32 v46, v43, v3 :: v_dual_mul_f32 v3, v41, v5
	s_delay_alu instid0(VALU_DEP_2) | instskip(NEXT) | instid1(VALU_DEP_2)
	v_fma_f32 v45, v43, v2, -v40
	v_fmac_f32_e32 v46, v44, v2
	v_mul_f32_e32 v2, v42, v5
	s_delay_alu instid0(VALU_DEP_4) | instskip(NEXT) | instid1(VALU_DEP_2)
	v_fmac_f32_e32 v3, v42, v4
	v_fma_f32 v2, v41, v4, -v2
	ds_load_2addr_stride64_b64 v[41:44], v149 offset0:8 offset1:10
	s_waitcnt lgkmcnt(0)
	v_mul_f32_e32 v4, v42, v17
	v_mul_f32_e32 v5, v41, v17
	s_delay_alu instid0(VALU_DEP_2) | instskip(NEXT) | instid1(VALU_DEP_2)
	v_fma_f32 v4, v41, v16, -v4
	v_fmac_f32_e32 v5, v42, v16
	s_clause 0x3
	global_load_b64 v[16:17], v62, s[2:3]
	global_load_b64 v[47:48], v64, s[2:3]
	;; [unrolled: 1-line block ×4, first 2 shown]
	s_waitcnt vmcnt(3)
	v_mul_f32_e32 v40, v44, v17
	v_mul_f32_e32 v54, v43, v17
	s_delay_alu instid0(VALU_DEP_2) | instskip(NEXT) | instid1(VALU_DEP_2)
	v_fma_f32 v53, v43, v16, -v40
	v_fmac_f32_e32 v54, v44, v16
	ds_load_2addr_stride64_b64 v[41:44], v149 offset0:16 offset1:18
	s_waitcnt lgkmcnt(0)
	v_mul_f32_e32 v16, v44, v11
	v_mul_f32_e32 v17, v43, v11
	s_waitcnt vmcnt(2)
	v_mul_f32_e32 v11, v41, v48
	s_delay_alu instid0(VALU_DEP_3) | instskip(NEXT) | instid1(VALU_DEP_3)
	v_fma_f32 v16, v43, v10, -v16
	v_dual_fmac_f32 v17, v44, v10 :: v_dual_mul_f32 v10, v42, v48
	s_delay_alu instid0(VALU_DEP_3) | instskip(NEXT) | instid1(VALU_DEP_2)
	v_fmac_f32_e32 v11, v42, v47
	v_fma_f32 v10, v41, v47, -v10
	ds_load_2addr_stride64_b64 v[41:44], v149 offset0:20 offset1:22
	s_waitcnt lgkmcnt(0)
	v_mul_f32_e32 v40, v42, v15
	s_waitcnt vmcnt(1)
	v_dual_mul_f32 v48, v41, v15 :: v_dual_mul_f32 v15, v43, v50
	s_delay_alu instid0(VALU_DEP_2) | instskip(NEXT) | instid1(VALU_DEP_2)
	v_fma_f32 v47, v41, v14, -v40
	v_fmac_f32_e32 v48, v42, v14
	v_mul_f32_e32 v14, v44, v50
	s_delay_alu instid0(VALU_DEP_4) | instskip(NEXT) | instid1(VALU_DEP_2)
	v_fmac_f32_e32 v15, v44, v49
	v_fma_f32 v14, v43, v49, -v14
	ds_load_2addr_stride64_b64 v[41:44], v149 offset0:28 offset1:30
	s_waitcnt lgkmcnt(0)
	v_mul_f32_e32 v40, v44, v9
	v_mul_f32_e32 v50, v43, v9
	s_delay_alu instid0(VALU_DEP_2) | instskip(NEXT) | instid1(VALU_DEP_2)
	v_fma_f32 v49, v43, v8, -v40
	v_fmac_f32_e32 v50, v44, v8
	s_clause 0x3
	global_load_b64 v[8:9], v63, s[2:3]
	global_load_b64 v[55:56], v65, s[2:3]
	;; [unrolled: 1-line block ×4, first 2 shown]
	s_waitcnt vmcnt(3)
	v_mul_f32_e32 v40, v42, v9
	v_mul_f32_e32 v62, v41, v9
	s_delay_alu instid0(VALU_DEP_2) | instskip(NEXT) | instid1(VALU_DEP_2)
	v_fma_f32 v61, v41, v8, -v40
	v_fmac_f32_e32 v62, v42, v8
	ds_load_2addr_stride64_b64 v[41:44], v149 offset0:32 offset1:34
	s_waitcnt lgkmcnt(0)
	v_mul_f32_e32 v8, v42, v33
	v_mul_f32_e32 v9, v41, v33
	s_waitcnt vmcnt(2)
	v_mul_f32_e32 v33, v43, v56
	s_delay_alu instid0(VALU_DEP_3) | instskip(NEXT) | instid1(VALU_DEP_3)
	v_fma_f32 v8, v41, v32, -v8
	v_fmac_f32_e32 v9, v42, v32
	v_mul_f32_e32 v32, v44, v56
	s_delay_alu instid0(VALU_DEP_4) | instskip(NEXT) | instid1(VALU_DEP_2)
	v_fmac_f32_e32 v33, v44, v55
	v_fma_f32 v32, v43, v55, -v32
	ds_load_2addr_stride64_b64 v[41:44], v149 offset0:40 offset1:42
	s_waitcnt lgkmcnt(0)
	v_mul_f32_e32 v40, v44, v27
	s_waitcnt vmcnt(1)
	v_dual_mul_f32 v56, v43, v27 :: v_dual_mul_f32 v27, v41, v58
	s_delay_alu instid0(VALU_DEP_2) | instskip(NEXT) | instid1(VALU_DEP_2)
	v_fma_f32 v55, v43, v26, -v40
	v_fmac_f32_e32 v56, v44, v26
	v_mul_f32_e32 v26, v42, v58
	s_delay_alu instid0(VALU_DEP_4) | instskip(NEXT) | instid1(VALU_DEP_2)
	v_fmac_f32_e32 v27, v42, v57
	v_fma_f32 v26, v41, v57, -v26
	ds_load_2addr_stride64_b64 v[41:44], v149 offset0:44 offset1:46
	s_waitcnt lgkmcnt(0)
	v_mul_f32_e32 v40, v42, v31
	s_waitcnt vmcnt(0)
	v_dual_mul_f32 v58, v41, v31 :: v_dual_mul_f32 v31, v43, v60
	s_delay_alu instid0(VALU_DEP_2) | instskip(NEXT) | instid1(VALU_DEP_2)
	v_fma_f32 v57, v41, v30, -v40
	v_fmac_f32_e32 v58, v42, v30
	v_mul_f32_e32 v30, v44, v60
	s_delay_alu instid0(VALU_DEP_4) | instskip(NEXT) | instid1(VALU_DEP_2)
	v_fmac_f32_e32 v31, v44, v59
	v_fma_f32 v30, v43, v59, -v30
	ds_load_2addr_stride64_b64 v[41:44], v149 offset0:52 offset1:54
	s_waitcnt lgkmcnt(0)
	v_mul_f32_e32 v40, v44, v25
	v_mul_f32_e32 v60, v43, v25
	s_delay_alu instid0(VALU_DEP_2) | instskip(NEXT) | instid1(VALU_DEP_2)
	v_fma_f32 v59, v43, v24, -v40
	v_fmac_f32_e32 v60, v44, v24
	s_clause 0x1
	global_load_b64 v[24:25], v67, s[2:3]
	global_load_b64 v[63:64], v69, s[2:3]
	s_mov_b32 s2, 0x11111111
	s_mov_b32 s3, 0x3f311111
	s_waitcnt vmcnt(1)
	v_mul_f32_e32 v40, v42, v25
	v_mul_f32_e32 v66, v41, v25
	s_delay_alu instid0(VALU_DEP_2) | instskip(NEXT) | instid1(VALU_DEP_2)
	v_fma_f32 v65, v41, v24, -v40
	v_fmac_f32_e32 v66, v42, v24
	ds_load_2addr_stride64_b64 v[41:44], v149 offset0:56 offset1:58
	s_waitcnt lgkmcnt(0)
	v_mul_f32_e32 v24, v42, v52
	v_mul_f32_e32 v25, v41, v52
	s_waitcnt vmcnt(0)
	v_mul_f32_e32 v40, v44, v64
	s_delay_alu instid0(VALU_DEP_3) | instskip(SKIP_2) | instid1(VALU_DEP_4)
	v_fma_f32 v24, v41, v51, -v24
	v_mul_f32_e32 v41, v43, v64
	v_fmac_f32_e32 v25, v42, v51
	v_fma_f32 v40, v43, v63, -v40
	s_delay_alu instid0(VALU_DEP_3)
	v_fmac_f32_e32 v41, v44, v63
	ds_store_2addr_stride64_b64 v149, v[6:7], v[0:1] offset1:2
	ds_store_2addr_stride64_b64 v149, v[12:13], v[18:19] offset0:12 offset1:14
	ds_store_2addr_stride64_b64 v149, v[20:21], v[22:23] offset0:24 offset1:26
	;; [unrolled: 1-line block ×14, first 2 shown]
	s_waitcnt lgkmcnt(0)
	s_barrier
	buffer_gl0_inv
	ds_load_2addr_stride64_b64 v[57:60], v149 offset0:12 offset1:14
	ds_load_2addr_stride64_b64 v[61:64], v149 offset0:24 offset1:26
	;; [unrolled: 1-line block ×8, first 2 shown]
	ds_load_2addr_stride64_b64 v[24:27], v149 offset1:2
	ds_load_2addr_stride64_b64 v[73:76], v149 offset0:4 offset1:6
	s_waitcnt lgkmcnt(8)
	v_sub_f32_e32 v0, v57, v61
	s_waitcnt lgkmcnt(6)
	v_dual_sub_f32 v1, v65, v69 :: v_dual_sub_f32 v2, v70, v66
	s_waitcnt lgkmcnt(2)
	v_dual_sub_f32 v3, v55, v51 :: v_dual_sub_f32 v4, v56, v52
	s_delay_alu instid0(VALU_DEP_2)
	v_dual_sub_f32 v30, v62, v70 :: v_dual_add_f32 v83, v0, v1
	v_sub_f32_e32 v0, v58, v62
	v_sub_f32_e32 v1, v66, v70
	;; [unrolled: 1-line block ×4, first 2 shown]
	v_dual_sub_f32 v36, v57, v65 :: v_dual_sub_f32 v37, v48, v56
	s_delay_alu instid0(VALU_DEP_4) | instskip(SKIP_3) | instid1(VALU_DEP_2)
	v_add_f32_e32 v106, v0, v1
	v_sub_f32_e32 v0, v43, v47
	v_dual_sub_f32 v1, v51, v55 :: v_dual_sub_f32 v38, v44, v52
	v_sub_f32_e32 v39, v47, v55
	v_dual_sub_f32 v40, v43, v51 :: v_dual_add_f32 v135, v0, v1
	v_sub_f32_e32 v0, v44, v48
	v_sub_f32_e32 v1, v52, v56
	s_delay_alu instid0(VALU_DEP_1) | instskip(SKIP_2) | instid1(VALU_DEP_1)
	v_add_f32_e32 v105, v0, v1
	v_sub_f32_e32 v0, v61, v57
	v_sub_f32_e32 v1, v69, v65
	v_dual_add_f32 v0, v0, v1 :: v_dual_sub_f32 v1, v62, v58
	s_delay_alu instid0(VALU_DEP_1) | instskip(NEXT) | instid1(VALU_DEP_1)
	v_dual_add_f32 v1, v1, v2 :: v_dual_sub_f32 v2, v47, v43
	v_dual_add_f32 v2, v2, v3 :: v_dual_sub_f32 v3, v48, v44
	s_delay_alu instid0(VALU_DEP_1) | instskip(SKIP_1) | instid1(VALU_DEP_1)
	v_dual_add_f32 v3, v3, v4 :: v_dual_add_f32 v4, v57, v65
	s_waitcnt lgkmcnt(1)
	v_fma_f32 v29, -0.5, v4, v24
	s_delay_alu instid0(VALU_DEP_1) | instskip(SKIP_1) | instid1(VALU_DEP_2)
	v_fmamk_f32 v31, v30, 0x3f737871, v29
	v_fmac_f32_e32 v29, 0xbf737871, v30
	v_fmac_f32_e32 v31, 0xbf167918, v32
	s_delay_alu instid0(VALU_DEP_2) | instskip(NEXT) | instid1(VALU_DEP_2)
	v_fmac_f32_e32 v29, 0x3f167918, v32
	v_fmac_f32_e32 v31, 0x3e9e377a, v0
	s_delay_alu instid0(VALU_DEP_2) | instskip(NEXT) | instid1(VALU_DEP_1)
	v_dual_fmac_f32 v29, 0x3e9e377a, v0 :: v_dual_add_f32 v0, v58, v66
	v_fma_f32 v33, -0.5, v0, v25
	s_delay_alu instid0(VALU_DEP_1) | instskip(SKIP_2) | instid1(VALU_DEP_2)
	v_dual_add_f32 v0, v43, v51 :: v_dual_fmamk_f32 v35, v34, 0xbf737871, v33
	v_fmac_f32_e32 v33, 0x3f737871, v34
	s_waitcnt lgkmcnt(0)
	v_fma_f32 v0, -0.5, v0, v75
	s_delay_alu instid0(VALU_DEP_3) | instskip(NEXT) | instid1(VALU_DEP_3)
	v_fmac_f32_e32 v35, 0x3f167918, v36
	v_fmac_f32_e32 v33, 0xbf167918, v36
	s_delay_alu instid0(VALU_DEP_2) | instskip(NEXT) | instid1(VALU_DEP_2)
	v_fmac_f32_e32 v35, 0x3e9e377a, v1
	v_fmac_f32_e32 v33, 0x3e9e377a, v1
	v_fmamk_f32 v1, v37, 0x3f737871, v0
	v_fmac_f32_e32 v0, 0xbf737871, v37
	s_delay_alu instid0(VALU_DEP_2) | instskip(NEXT) | instid1(VALU_DEP_2)
	v_fmac_f32_e32 v1, 0xbf167918, v38
	v_fmac_f32_e32 v0, 0x3f167918, v38
	s_delay_alu instid0(VALU_DEP_2) | instskip(NEXT) | instid1(VALU_DEP_2)
	v_fmac_f32_e32 v1, 0x3e9e377a, v2
	v_fmac_f32_e32 v0, 0x3e9e377a, v2
	v_add_f32_e32 v2, v44, v52
	s_delay_alu instid0(VALU_DEP_1) | instskip(NEXT) | instid1(VALU_DEP_1)
	v_fma_f32 v2, -0.5, v2, v76
	v_fmamk_f32 v4, v39, 0xbf737871, v2
	v_fmac_f32_e32 v2, 0x3f737871, v39
	s_delay_alu instid0(VALU_DEP_2) | instskip(NEXT) | instid1(VALU_DEP_2)
	v_fmac_f32_e32 v4, 0x3f167918, v40
	v_fmac_f32_e32 v2, 0xbf167918, v40
	s_delay_alu instid0(VALU_DEP_2) | instskip(NEXT) | instid1(VALU_DEP_2)
	v_fmac_f32_e32 v4, 0x3e9e377a, v3
	v_dual_fmac_f32 v2, 0x3e9e377a, v3 :: v_dual_add_f32 v3, v48, v56
	s_delay_alu instid0(VALU_DEP_2) | instskip(SKIP_1) | instid1(VALU_DEP_3)
	v_mul_f32_e32 v197, 0xbf737871, v4
	v_mul_f32_e32 v199, 0x3e9e377a, v4
	v_fma_f32 v148, -0.5, v3, v76
	s_delay_alu instid0(VALU_DEP_4) | instskip(SKIP_2) | instid1(VALU_DEP_3)
	v_dual_add_f32 v3, v47, v55 :: v_dual_mul_f32 v28, 0xbf737871, v2
	v_mul_f32_e32 v104, 0xbe9e377a, v2
	v_dual_add_f32 v2, v75, v43 :: v_dual_fmac_f32 v197, 0x3e9e377a, v1
	v_fma_f32 v176, -0.5, v3, v75
	v_fmamk_f32 v3, v40, 0x3f737871, v148
	v_fmac_f32_e32 v199, 0x3f737871, v1
	v_fmac_f32_e32 v28, 0xbe9e377a, v0
	;; [unrolled: 1-line block ×3, first 2 shown]
	v_fmamk_f32 v5, v38, 0xbf737871, v176
	v_dual_fmac_f32 v3, 0x3f167918, v39 :: v_dual_add_f32 v0, v24, v57
	v_dual_add_f32 v1, v61, v69 :: v_dual_add_f32 v2, v2, v47
	s_delay_alu instid0(VALU_DEP_3) | instskip(NEXT) | instid1(VALU_DEP_3)
	v_fmac_f32_e32 v5, 0xbf167918, v37
	v_fmac_f32_e32 v3, 0x3e9e377a, v105
	s_delay_alu instid0(VALU_DEP_4) | instskip(NEXT) | instid1(VALU_DEP_4)
	v_add_f32_e32 v0, v0, v61
	v_fma_f32 v24, -0.5, v1, v24
	v_add_f32_e32 v1, v25, v58
	v_fmac_f32_e32 v5, 0x3e9e377a, v135
	v_mul_f32_e32 v183, 0xbf167918, v3
	v_add_f32_e32 v2, v2, v55
	v_add_f32_e32 v4, v62, v70
	s_delay_alu instid0(VALU_DEP_4) | instskip(SKIP_2) | instid1(VALU_DEP_4)
	v_dual_add_f32 v1, v1, v62 :: v_dual_mul_f32 v196, 0x3f167918, v5
	v_add_f32_e32 v0, v0, v69
	v_fmac_f32_e32 v148, 0xbf737871, v40
	v_fma_f32 v25, -0.5, v4, v25
	s_delay_alu instid0(VALU_DEP_4) | instskip(SKIP_2) | instid1(VALU_DEP_4)
	v_dual_add_f32 v1, v1, v70 :: v_dual_fmac_f32 v196, 0x3f4f1bbd, v3
	v_add_f32_e32 v3, v76, v44
	v_fmamk_f32 v44, v32, 0xbf737871, v24
	v_fmamk_f32 v47, v36, 0x3f737871, v25
	v_fmac_f32_e32 v183, 0x3f4f1bbd, v5
	v_add_f32_e32 v43, v0, v65
	s_delay_alu instid0(VALU_DEP_4) | instskip(NEXT) | instid1(VALU_DEP_4)
	v_dual_add_f32 v3, v3, v48 :: v_dual_fmac_f32 v44, 0xbf167918, v30
	v_fmac_f32_e32 v47, 0x3f167918, v34
	v_dual_add_f32 v48, v1, v66 :: v_dual_add_f32 v51, v2, v51
	s_delay_alu instid0(VALU_DEP_3)
	v_add_f32_e32 v3, v3, v56
	ds_load_2addr_stride64_b64 v[55:58], v149 offset0:8 offset1:10
	ds_load_2addr_stride64_b64 v[12:15], v149 offset0:20 offset1:22
	;; [unrolled: 1-line block ×5, first 2 shown]
	s_waitcnt lgkmcnt(0)
	s_barrier
	buffer_gl0_inv
	scratch_load_b32 v61, off, off offset:272 ; 4-byte Folded Reload
	v_add_f32_e32 v52, v3, v52
	v_dual_fmac_f32 v44, 0x3e9e377a, v83 :: v_dual_fmac_f32 v47, 0x3e9e377a, v106
	v_fmac_f32_e32 v176, 0x3f737871, v38
	v_fmac_f32_e32 v148, 0xbf167918, v39
	s_delay_alu instid0(VALU_DEP_4) | instskip(NEXT) | instid1(VALU_DEP_4)
	v_dual_add_f32 v0, v43, v51 :: v_dual_add_f32 v1, v48, v52
	v_dual_add_f32 v2, v44, v183 :: v_dual_add_f32 v3, v47, v196
	v_fmac_f32_e32 v24, 0x3f737871, v32
	v_fmac_f32_e32 v25, 0xbf737871, v36
	;; [unrolled: 1-line block ×4, first 2 shown]
	v_add_f32_e32 v4, v31, v197
	v_dual_add_f32 v6, v29, v28 :: v_dual_add_f32 v5, v35, v199
	v_add_f32_e32 v7, v33, v104
	s_waitcnt vmcnt(0)
	ds_store_b128 v61, v[0:3]
	ds_store_b128 v61, v[4:7] offset:16
	v_sub_f32_e32 v6, v31, v197
	v_fmac_f32_e32 v24, 0x3f167918, v30
	v_fmac_f32_e32 v25, 0xbf167918, v34
	;; [unrolled: 1-line block ×3, first 2 shown]
	v_mul_f32_e32 v30, 0xbf167918, v148
	v_mul_f32_e32 v31, 0xbf4f1bbd, v148
	s_delay_alu instid0(VALU_DEP_4) | instskip(SKIP_1) | instid1(VALU_DEP_4)
	v_dual_fmac_f32 v24, 0x3e9e377a, v83 :: v_dual_fmac_f32 v25, 0x3e9e377a, v106
	v_sub_f32_e32 v2, v43, v51
	v_fmac_f32_e32 v30, 0xbf4f1bbd, v176
	s_delay_alu instid0(VALU_DEP_4) | instskip(SKIP_2) | instid1(VALU_DEP_3)
	v_fmac_f32_e32 v31, 0x3f167918, v176
	v_sub_f32_e32 v3, v48, v52
	v_dual_sub_f32 v4, v44, v183 :: v_dual_sub_f32 v5, v47, v196
	v_dual_add_f32 v0, v24, v30 :: v_dual_add_f32 v1, v25, v31
	v_sub_f32_e32 v7, v35, v199
	ds_store_b128 v61, v[0:3] offset:32
	ds_store_b128 v61, v[4:7] offset:48
	v_sub_f32_e32 v0, v29, v28
	v_dual_sub_f32 v2, v24, v30 :: v_dual_sub_f32 v1, v33, v104
	v_sub_f32_e32 v3, v25, v31
	v_dual_add_f32 v29, v59, v67 :: v_dual_sub_f32 v24, v64, v72
	v_dual_sub_f32 v4, v63, v59 :: v_dual_add_f32 v5, v64, v72
	ds_store_b128 v61, v[0:3] offset:64
	v_dual_add_f32 v0, v26, v59 :: v_dual_add_f32 v1, v27, v60
	v_add_f32_e32 v31, v60, v68
	v_sub_f32_e32 v33, v71, v67
	v_fma_f32 v29, -0.5, v29, v26
	s_delay_alu instid0(VALU_DEP_4) | instskip(SKIP_2) | instid1(VALU_DEP_3)
	v_dual_add_f32 v0, v0, v63 :: v_dual_add_f32 v1, v1, v64
	v_dual_sub_f32 v28, v60, v68 :: v_dual_sub_f32 v25, v63, v71
	v_sub_f32_e32 v7, v64, v60
	v_dual_add_f32 v0, v0, v71 :: v_dual_add_f32 v1, v1, v72
	v_dual_sub_f32 v35, v72, v68 :: v_dual_sub_f32 v30, v59, v67
	v_sub_f32_e32 v3, v59, v63
	s_delay_alu instid0(VALU_DEP_3) | instskip(SKIP_4) | instid1(VALU_DEP_3)
	v_dual_add_f32 v36, v0, v67 :: v_dual_add_f32 v37, v1, v68
	v_sub_f32_e32 v0, v12, v8
	v_dual_sub_f32 v1, v20, v16 :: v_dual_sub_f32 v32, v67, v71
	v_sub_f32_e32 v40, v9, v17
	v_dual_sub_f32 v43, v13, v21 :: v_dual_sub_f32 v44, v8, v16
	v_add_f32_e32 v38, v0, v1
	v_sub_f32_e32 v0, v13, v9
	v_dual_sub_f32 v1, v21, v17 :: v_dual_add_f32 v32, v3, v32
	v_sub_f32_e32 v3, v8, v12
	v_sub_f32_e32 v47, v12, v20
	;; [unrolled: 1-line block ×3, first 2 shown]
	s_delay_alu instid0(VALU_DEP_4)
	v_add_f32_e32 v39, v0, v1
	v_add_f32_e32 v0, v4, v33
	v_fma_f32 v33, -0.5, v5, v27
	v_fmac_f32_e32 v27, -0.5, v31
	v_fmamk_f32 v31, v24, 0x3f737871, v29
	v_fmac_f32_e32 v29, 0xbf737871, v24
	v_dual_add_f32 v1, v7, v35 :: v_dual_sub_f32 v4, v16, v20
	s_delay_alu instid0(VALU_DEP_4) | instskip(NEXT) | instid1(VALU_DEP_4)
	v_fmamk_f32 v35, v25, 0xbf737871, v27
	v_fmac_f32_e32 v31, 0xbf167918, v28
	s_delay_alu instid0(VALU_DEP_4)
	v_fmac_f32_e32 v29, 0x3f167918, v28
	v_fmac_f32_e32 v27, 0x3f737871, v25
	v_add_f32_e32 v3, v3, v4
	v_fmac_f32_e32 v35, 0x3f167918, v30
	v_fmac_f32_e32 v31, 0x3e9e377a, v0
	v_fmac_f32_e32 v29, 0x3e9e377a, v0
	v_dual_add_f32 v0, v12, v20 :: v_dual_fmac_f32 v27, 0xbf167918, v30
	s_delay_alu instid0(VALU_DEP_4) | instskip(SKIP_2) | instid1(VALU_DEP_4)
	v_fmac_f32_e32 v35, 0x3e9e377a, v1
	v_sub_f32_e32 v4, v9, v13
	v_sub_f32_e32 v5, v17, v21
	v_fma_f32 v0, -0.5, v0, v55
	v_dual_fmac_f32 v27, 0x3e9e377a, v1 :: v_dual_add_f32 v2, v63, v71
	v_sub_f32_e32 v34, v68, v72
	s_delay_alu instid0(VALU_DEP_4) | instskip(NEXT) | instid1(VALU_DEP_4)
	v_add_f32_e32 v4, v4, v5
	v_fmamk_f32 v1, v40, 0x3f737871, v0
	v_fmac_f32_e32 v0, 0xbf737871, v40
	s_delay_alu instid0(VALU_DEP_2) | instskip(NEXT) | instid1(VALU_DEP_2)
	v_dual_add_f32 v34, v6, v34 :: v_dual_fmac_f32 v1, 0xbf167918, v43
	v_fmac_f32_e32 v0, 0x3f167918, v43
	s_delay_alu instid0(VALU_DEP_2) | instskip(NEXT) | instid1(VALU_DEP_2)
	v_fmac_f32_e32 v1, 0x3e9e377a, v3
	v_dual_fmac_f32 v0, 0x3e9e377a, v3 :: v_dual_add_f32 v3, v13, v21
	s_delay_alu instid0(VALU_DEP_1) | instskip(NEXT) | instid1(VALU_DEP_1)
	v_fma_f32 v3, -0.5, v3, v56
	v_fmamk_f32 v5, v44, 0xbf737871, v3
	v_fmac_f32_e32 v3, 0x3f737871, v44
	s_delay_alu instid0(VALU_DEP_2) | instskip(NEXT) | instid1(VALU_DEP_2)
	v_fmac_f32_e32 v5, 0x3f167918, v47
	v_fmac_f32_e32 v3, 0xbf167918, v47
	s_delay_alu instid0(VALU_DEP_2) | instskip(NEXT) | instid1(VALU_DEP_2)
	v_fmac_f32_e32 v5, 0x3e9e377a, v4
	v_dual_fmac_f32 v3, 0x3e9e377a, v4 :: v_dual_add_f32 v4, v9, v17
	s_delay_alu instid0(VALU_DEP_2) | instskip(SKIP_1) | instid1(VALU_DEP_3)
	v_mul_f32_e32 v60, 0xbf737871, v5
	v_mul_f32_e32 v61, 0x3e9e377a, v5
	v_fma_f32 v48, -0.5, v4, v56
	v_add_f32_e32 v4, v8, v16
	v_mul_f32_e32 v62, 0xbf737871, v3
	v_fmac_f32_e32 v60, 0x3e9e377a, v1
	v_fmac_f32_e32 v61, 0x3f737871, v1
	v_add_f32_e32 v1, v56, v13
	v_fma_f32 v51, -0.5, v4, v55
	v_mul_f32_e32 v63, 0xbe9e377a, v3
	v_fmamk_f32 v4, v47, 0x3f737871, v48
	s_delay_alu instid0(VALU_DEP_4) | instskip(NEXT) | instid1(VALU_DEP_4)
	v_dual_fmac_f32 v62, 0xbe9e377a, v0 :: v_dual_add_f32 v1, v1, v9
	v_fmamk_f32 v6, v43, 0xbf737871, v51
	s_delay_alu instid0(VALU_DEP_4) | instskip(SKIP_1) | instid1(VALU_DEP_4)
	v_fmac_f32_e32 v63, 0x3f737871, v0
	v_add_f32_e32 v0, v55, v12
	v_dual_fmac_f32 v4, 0x3f167918, v44 :: v_dual_add_f32 v1, v1, v17
	scratch_load_b32 v17, off, off offset:268 ; 4-byte Folded Reload
	v_fmac_f32_e32 v6, 0xbf167918, v40
	v_add_f32_e32 v0, v0, v8
	v_fma_f32 v8, -0.5, v2, v26
	v_fmac_f32_e32 v4, 0x3e9e377a, v39
	v_fmamk_f32 v12, v30, 0x3f737871, v33
	v_fmac_f32_e32 v6, 0x3e9e377a, v38
	v_add_f32_e32 v0, v0, v16
	v_fmamk_f32 v9, v28, 0xbf737871, v8
	v_mul_f32_e32 v52, 0xbf167918, v4
	s_delay_alu instid0(VALU_DEP_4) | instskip(SKIP_1) | instid1(VALU_DEP_4)
	v_dual_fmac_f32 v12, 0x3f167918, v25 :: v_dual_mul_f32 v59, 0x3f167918, v6
	v_fmac_f32_e32 v48, 0xbf737871, v47
	v_fmac_f32_e32 v9, 0xbf167918, v24
	s_delay_alu instid0(VALU_DEP_4) | instskip(NEXT) | instid1(VALU_DEP_4)
	v_dual_fmac_f32 v52, 0x3f4f1bbd, v6 :: v_dual_add_f32 v13, v0, v20
	v_dual_fmac_f32 v59, 0x3f4f1bbd, v4 :: v_dual_add_f32 v16, v1, v21
	s_delay_alu instid0(VALU_DEP_3) | instskip(SKIP_2) | instid1(VALU_DEP_4)
	v_dual_fmac_f32 v9, 0x3e9e377a, v32 :: v_dual_fmac_f32 v12, 0x3e9e377a, v34
	v_fmac_f32_e32 v51, 0x3f737871, v43
	v_fmac_f32_e32 v48, 0xbf167918, v44
	v_dual_add_f32 v0, v36, v13 :: v_dual_add_f32 v1, v37, v16
	s_delay_alu instid0(VALU_DEP_4)
	v_dual_add_f32 v2, v9, v52 :: v_dual_add_f32 v3, v12, v59
	v_fmac_f32_e32 v8, 0x3f737871, v28
	v_fmac_f32_e32 v33, 0xbf737871, v30
	;; [unrolled: 1-line block ×4, first 2 shown]
	v_add_f32_e32 v4, v31, v60
	v_dual_add_f32 v6, v29, v62 :: v_dual_add_f32 v5, v35, v61
	v_add_f32_e32 v7, v27, v63
	s_waitcnt vmcnt(0)
	ds_store_b128 v17, v[0:3]
	ds_store_b128 v17, v[4:7] offset:16
	v_dual_sub_f32 v4, v9, v52 :: v_dual_sub_f32 v5, v12, v59
	v_fmac_f32_e32 v8, 0x3f167918, v24
	v_fmac_f32_e32 v33, 0xbf167918, v25
	;; [unrolled: 1-line block ×3, first 2 shown]
	v_mul_f32_e32 v9, 0xbf167918, v48
	v_mul_f32_e32 v12, 0xbf4f1bbd, v48
	s_delay_alu instid0(VALU_DEP_4) | instskip(NEXT) | instid1(VALU_DEP_3)
	v_dual_fmac_f32 v8, 0x3e9e377a, v32 :: v_dual_fmac_f32 v33, 0x3e9e377a, v34
	v_dual_sub_f32 v2, v36, v13 :: v_dual_fmac_f32 v9, 0xbf4f1bbd, v51
	s_delay_alu instid0(VALU_DEP_3) | instskip(SKIP_2) | instid1(VALU_DEP_3)
	v_dual_fmac_f32 v12, 0x3f167918, v51 :: v_dual_sub_f32 v3, v37, v16
	v_sub_f32_e32 v6, v31, v60
	v_sub_f32_e32 v7, v35, v61
	v_dual_add_f32 v0, v8, v9 :: v_dual_add_f32 v1, v33, v12
	ds_store_b128 v17, v[0:3] offset:32
	ds_store_b128 v17, v[4:7] offset:48
	scratch_load_b32 v39, off, off offset:264 ; 4-byte Folded Reload
	v_dual_sub_f32 v1, v27, v63 :: v_dual_sub_f32 v0, v29, v62
	v_dual_sub_f32 v2, v8, v9 :: v_dual_sub_f32 v3, v33, v12
	v_sub_f32_e32 v29, v11, v19
	v_add_f32_e32 v32, v11, v19
	v_sub_f32_e32 v33, v15, v11
	v_sub_f32_e32 v34, v15, v23
	ds_store_b128 v17, v[0:3] offset:64
	v_dual_add_f32 v1, v74, v42 :: v_dual_add_f32 v0, v73, v41
	v_dual_add_f32 v13, v41, v49 :: v_dual_add_f32 v28, v10, v18
	v_sub_f32_e32 v30, v14, v10
	s_delay_alu instid0(VALU_DEP_3) | instskip(SKIP_3) | instid1(VALU_DEP_4)
	v_dual_add_f32 v1, v1, v46 :: v_dual_add_f32 v0, v0, v45
	v_sub_f32_e32 v31, v10, v14
	v_fma_f32 v32, -0.5, v32, v58
	v_sub_f32_e32 v8, v46, v54
	v_dual_add_f32 v1, v1, v54 :: v_dual_add_f32 v0, v0, v53
	v_add_f32_e32 v35, v14, v22
	v_sub_f32_e32 v37, v23, v19
	v_fma_f32 v13, -0.5, v13, v73
	s_delay_alu instid0(VALU_DEP_4) | instskip(SKIP_3) | instid1(VALU_DEP_3)
	v_add_f32_e32 v27, v1, v50
	v_dual_add_f32 v1, v58, v15 :: v_dual_add_f32 v26, v0, v49
	v_add_f32_e32 v0, v57, v14
	v_dual_sub_f32 v14, v14, v22 :: v_dual_sub_f32 v3, v41, v45
	v_add_f32_e32 v1, v1, v11
	v_sub_f32_e32 v11, v11, v15
	s_delay_alu instid0(VALU_DEP_4) | instskip(NEXT) | instid1(VALU_DEP_3)
	v_dual_add_f32 v15, v15, v23 :: v_dual_add_f32 v0, v0, v10
	v_dual_sub_f32 v10, v10, v18 :: v_dual_add_f32 v1, v1, v19
	v_sub_f32_e32 v19, v19, v23
	s_delay_alu instid0(VALU_DEP_3) | instskip(NEXT) | instid1(VALU_DEP_4)
	v_fmac_f32_e32 v58, -0.5, v15
	v_add_f32_e32 v0, v0, v18
	v_sub_f32_e32 v4, v45, v41
	v_dual_add_f32 v23, v1, v23 :: v_dual_sub_f32 v12, v42, v50
	s_delay_alu instid0(VALU_DEP_4)
	v_fmamk_f32 v1, v10, 0xbf737871, v58
	v_fmac_f32_e32 v58, 0x3f737871, v10
	v_sub_f32_e32 v20, v49, v53
	v_dual_sub_f32 v21, v53, v49 :: v_dual_sub_f32 v36, v22, v18
	v_sub_f32_e32 v18, v18, v22
	v_add_f32_e32 v22, v0, v22
	v_add_f32_e32 v0, v11, v19
	v_fmac_f32_e32 v58, 0xbf167918, v14
	v_fma_f32 v15, -0.5, v35, v57
	v_fmamk_f32 v35, v8, 0x3f737871, v13
	v_fmac_f32_e32 v13, 0xbf737871, v8
	v_fmac_f32_e32 v1, 0x3f167918, v14
	v_fmac_f32_e32 v58, 0x3e9e377a, v0
	v_dual_add_f32 v20, v3, v20 :: v_dual_add_f32 v3, v4, v21
	v_fmac_f32_e32 v35, 0xbf167918, v12
	v_fmac_f32_e32 v13, 0x3f167918, v12
	;; [unrolled: 1-line block ×3, first 2 shown]
	v_fmamk_f32 v0, v29, 0x3f737871, v15
	v_fmac_f32_e32 v15, 0xbf737871, v29
	v_add_f32_e32 v5, v46, v54
	v_sub_f32_e32 v6, v42, v46
	v_sub_f32_e32 v24, v50, v54
	v_fma_f32 v11, -0.5, v28, v57
	v_fmac_f32_e32 v35, 0x3e9e377a, v3
	v_fmac_f32_e32 v13, 0x3e9e377a, v3
	v_add_f32_e32 v3, v31, v18
	v_dual_fmac_f32 v15, 0x3f167918, v34 :: v_dual_add_f32 v2, v45, v53
	v_mul_f32_e32 v19, 0xbf737871, v58
	v_mul_f32_e32 v28, 0xbe9e377a, v58
	v_add_f32_e32 v24, v6, v24
	v_fma_f32 v21, -0.5, v5, v74
	v_fmamk_f32 v5, v14, 0x3f737871, v32
	v_fmamk_f32 v6, v34, 0xbf737871, v11
	v_fmac_f32_e32 v15, 0x3e9e377a, v3
	v_dual_add_f32 v17, v42, v50 :: v_dual_sub_f32 v16, v41, v49
	v_dual_add_f32 v30, v30, v36 :: v_dual_add_f32 v33, v33, v37
	v_fmac_f32_e32 v5, 0x3f167918, v10
	v_fmac_f32_e32 v6, 0xbf167918, v29
	;; [unrolled: 1-line block ×4, first 2 shown]
	v_fma_f32 v15, -0.5, v2, v73
	v_dual_fmac_f32 v32, 0xbf737871, v14 :: v_dual_sub_f32 v9, v45, v53
	v_dual_fmac_f32 v74, -0.5, v17 :: v_dual_sub_f32 v7, v46, v42
	v_sub_f32_e32 v25, v54, v50
	v_dual_fmac_f32 v5, 0x3e9e377a, v33 :: v_dual_fmac_f32 v6, 0x3e9e377a, v30
	v_fmamk_f32 v37, v12, 0xbf737871, v15
	v_fmamk_f32 v38, v16, 0x3f737871, v21
	v_fmac_f32_e32 v11, 0x3f737871, v34
	v_fmac_f32_e32 v32, 0xbf167918, v10
	v_fmamk_f32 v36, v9, 0xbf737871, v74
	v_fmac_f32_e32 v74, 0x3f737871, v9
	v_fmac_f32_e32 v0, 0xbf167918, v34
	v_add_f32_e32 v4, v7, v25
	v_mul_f32_e32 v17, 0xbf167918, v5
	v_mul_f32_e32 v25, 0x3f167918, v6
	v_fmac_f32_e32 v37, 0xbf167918, v8
	v_fmac_f32_e32 v38, 0x3f167918, v9
	v_fmac_f32_e32 v15, 0x3f737871, v12
	v_fmac_f32_e32 v21, 0xbf737871, v16
	v_fmac_f32_e32 v11, 0x3f167918, v29
	v_fmac_f32_e32 v32, 0x3e9e377a, v33
	v_fmac_f32_e32 v36, 0x3f167918, v16
	v_fmac_f32_e32 v74, 0xbf167918, v16
	v_fmac_f32_e32 v0, 0x3e9e377a, v3
	v_mul_f32_e32 v18, 0xbf737871, v1
	v_mul_f32_e32 v31, 0x3e9e377a, v1
	v_fmac_f32_e32 v17, 0x3f4f1bbd, v6
	v_fmac_f32_e32 v25, 0x3f4f1bbd, v5
	;; [unrolled: 1-line block ×7, first 2 shown]
	v_mul_f32_e32 v8, 0xbf167918, v32
	v_mul_f32_e32 v9, 0xbf4f1bbd, v32
	v_fmac_f32_e32 v36, 0x3e9e377a, v4
	v_fmac_f32_e32 v74, 0x3e9e377a, v4
	;; [unrolled: 1-line block ×3, first 2 shown]
	v_dual_fmac_f32 v31, 0x3f737871, v0 :: v_dual_add_f32 v0, v26, v22
	v_dual_add_f32 v1, v27, v23 :: v_dual_add_f32 v2, v37, v17
	v_add_f32_e32 v3, v38, v25
	v_fmac_f32_e32 v15, 0x3e9e377a, v20
	v_fmac_f32_e32 v21, 0x3e9e377a, v24
	;; [unrolled: 1-line block ×3, first 2 shown]
	v_dual_fmac_f32 v9, 0x3f167918, v11 :: v_dual_add_f32 v4, v35, v18
	v_add_f32_e32 v6, v13, v19
	v_add_f32_e32 v5, v36, v31
	;; [unrolled: 1-line block ×3, first 2 shown]
	s_waitcnt vmcnt(0)
	ds_store_b128 v39, v[0:3]
	ds_store_b128 v39, v[4:7] offset:16
	v_dual_sub_f32 v2, v26, v22 :: v_dual_sub_f32 v3, v27, v23
	v_dual_add_f32 v0, v15, v8 :: v_dual_add_f32 v1, v21, v9
	v_sub_f32_e32 v4, v37, v17
	v_dual_sub_f32 v6, v35, v18 :: v_dual_sub_f32 v5, v38, v25
	v_sub_f32_e32 v7, v36, v31
	ds_store_b128 v39, v[0:3] offset:32
	ds_store_b128 v39, v[4:7] offset:48
	v_dual_sub_f32 v1, v74, v28 :: v_dual_sub_f32 v0, v13, v19
	v_dual_sub_f32 v2, v15, v8 :: v_dual_sub_f32 v3, v21, v9
	ds_store_b128 v39, v[0:3] offset:64
	s_waitcnt lgkmcnt(0)
	s_barrier
	buffer_gl0_inv
	scratch_load_b64 v[4:5], off, off offset:284 ; 8-byte Folded Reload
	ds_load_2addr_stride64_b64 v[0:3], v149 offset0:52 offset1:54
	s_waitcnt vmcnt(0) lgkmcnt(0)
	v_mul_f32_e32 v48, v5, v1
	s_delay_alu instid0(VALU_DEP_1) | instskip(SKIP_1) | instid1(VALU_DEP_1)
	v_fmac_f32_e32 v48, v4, v0
	v_mul_f32_e32 v0, v5, v0
	v_fma_f32 v49, v4, v1, -v0
	scratch_load_b64 v[4:5], off, off offset:276 ; 8-byte Folded Reload
	s_waitcnt vmcnt(0)
	v_mul_f32_e32 v46, v5, v3
	v_mul_f32_e32 v0, v5, v2
	s_delay_alu instid0(VALU_DEP_2) | instskip(NEXT) | instid1(VALU_DEP_2)
	v_fmac_f32_e32 v46, v4, v2
	v_fma_f32 v47, v4, v3, -v0
	scratch_load_b64 v[4:5], off, off offset:308 ; 8-byte Folded Reload
	ds_load_2addr_stride64_b64 v[0:3], v149 offset0:56 offset1:58
	s_waitcnt vmcnt(0) lgkmcnt(0)
	v_mul_f32_e32 v44, v5, v1
	s_delay_alu instid0(VALU_DEP_1) | instskip(SKIP_1) | instid1(VALU_DEP_1)
	v_fmac_f32_e32 v44, v4, v0
	v_mul_f32_e32 v0, v5, v0
	v_fma_f32 v45, v4, v1, -v0
	scratch_load_b64 v[4:5], off, off offset:300 ; 8-byte Folded Reload
	s_waitcnt vmcnt(0)
	v_mul_f32_e32 v41, v5, v3
	v_mul_f32_e32 v0, v5, v2
	s_delay_alu instid0(VALU_DEP_2) | instskip(NEXT) | instid1(VALU_DEP_2)
	v_fmac_f32_e32 v41, v4, v2
	v_fma_f32 v42, v4, v3, -v0
	scratch_load_b64 v[4:5], off, off offset:292 ; 8-byte Folded Reload
	ds_load_2addr_stride64_b64 v[0:3], v149 offset0:48 offset1:50
	s_waitcnt lgkmcnt(0)
	v_mul_f32_e32 v43, v80, v1
	s_delay_alu instid0(VALU_DEP_1) | instskip(SKIP_1) | instid1(VALU_DEP_1)
	v_fmac_f32_e32 v43, v79, v0
	v_mul_f32_e32 v0, v80, v0
	v_fma_f32 v40, v79, v1, -v0
	s_waitcnt vmcnt(0)
	v_mul_f32_e32 v13, v5, v3
	s_delay_alu instid0(VALU_DEP_1) | instskip(SKIP_1) | instid1(VALU_DEP_1)
	v_fmac_f32_e32 v13, v4, v2
	v_mul_f32_e32 v2, v5, v2
	v_fma_f32 v14, v4, v3, -v2
	ds_load_2addr_stride64_b64 v[0:3], v149 offset0:36 offset1:38
	s_waitcnt lgkmcnt(0)
	v_dual_mul_f32 v39, v78, v3 :: v_dual_mul_f32 v38, v137, v1
	s_delay_alu instid0(VALU_DEP_1) | instskip(SKIP_1) | instid1(VALU_DEP_3)
	v_fmac_f32_e32 v39, v77, v2
	v_mul_f32_e32 v2, v78, v2
	v_fmac_f32_e32 v38, v136, v0
	v_mul_f32_e32 v0, v137, v0
	s_delay_alu instid0(VALU_DEP_3) | instskip(NEXT) | instid1(VALU_DEP_2)
	v_fma_f32 v37, v77, v3, -v2
	v_fma_f32 v33, v136, v1, -v0
	ds_load_2addr_stride64_b64 v[0:3], v149 offset0:44 offset1:46
	s_waitcnt lgkmcnt(0)
	v_mul_f32_e32 v34, v139, v3
	v_mul_f32_e32 v20, v143, v1
	s_delay_alu instid0(VALU_DEP_2) | instskip(SKIP_1) | instid1(VALU_DEP_3)
	v_fmac_f32_e32 v34, v138, v2
	v_mul_f32_e32 v2, v139, v2
	v_fmac_f32_e32 v20, v142, v0
	v_mul_f32_e32 v0, v143, v0
	s_delay_alu instid0(VALU_DEP_3) | instskip(NEXT) | instid1(VALU_DEP_2)
	v_fma_f32 v35, v138, v3, -v2
	v_fma_f32 v21, v142, v1, -v0
	ds_load_2addr_stride64_b64 v[0:3], v149 offset0:32 offset1:34
	s_waitcnt lgkmcnt(0)
	v_mul_f32_e32 v22, v141, v3
	v_mul_f32_e32 v24, v151, v1
	s_delay_alu instid0(VALU_DEP_2) | instskip(SKIP_1) | instid1(VALU_DEP_3)
	v_fmac_f32_e32 v22, v140, v2
	v_mul_f32_e32 v2, v141, v2
	v_fmac_f32_e32 v24, v150, v0
	v_mul_f32_e32 v0, v151, v0
	s_delay_alu instid0(VALU_DEP_3) | instskip(NEXT) | instid1(VALU_DEP_2)
	v_fma_f32 v23, v140, v3, -v2
	v_fma_f32 v25, v150, v1, -v0
	ds_load_2addr_stride64_b64 v[0:3], v149 offset0:40 offset1:42
	s_waitcnt lgkmcnt(0)
	v_mul_f32_e32 v26, v153, v3
	s_delay_alu instid0(VALU_DEP_1) | instskip(NEXT) | instid1(VALU_DEP_1)
	v_dual_mul_f32 v15, v161, v1 :: v_dual_fmac_f32 v26, v152, v2
	v_dual_mul_f32 v2, v153, v2 :: v_dual_fmac_f32 v15, v160, v0
	v_mul_f32_e32 v0, v161, v0
	s_delay_alu instid0(VALU_DEP_2) | instskip(NEXT) | instid1(VALU_DEP_2)
	v_fma_f32 v27, v152, v3, -v2
	v_fma_f32 v16, v160, v1, -v0
	ds_load_2addr_stride64_b64 v[0:3], v149 offset0:28 offset1:30
	s_waitcnt lgkmcnt(0)
	v_mul_f32_e32 v28, v159, v3
	s_delay_alu instid0(VALU_DEP_1) | instskip(NEXT) | instid1(VALU_DEP_1)
	v_dual_mul_f32 v11, v187, v1 :: v_dual_fmac_f32 v28, v158, v2
	v_dual_mul_f32 v2, v159, v2 :: v_dual_fmac_f32 v11, v186, v0
	v_mul_f32_e32 v0, v187, v0
	s_delay_alu instid0(VALU_DEP_3) | instskip(NEXT) | instid1(VALU_DEP_3)
	v_add_f32_e32 v60, v28, v13
	v_fma_f32 v29, v158, v3, -v2
	s_delay_alu instid0(VALU_DEP_3) | instskip(SKIP_4) | instid1(VALU_DEP_2)
	v_fma_f32 v12, v186, v1, -v0
	ds_load_2addr_stride64_b64 v[0:3], v149 offset0:16 offset1:18
	s_waitcnt lgkmcnt(0)
	v_mul_f32_e32 v9, v185, v3
	v_mul_f32_e32 v17, v145, v1
	v_fmac_f32_e32 v9, v184, v2
	s_delay_alu instid0(VALU_DEP_2) | instskip(SKIP_1) | instid1(VALU_DEP_2)
	v_dual_mul_f32 v2, v185, v2 :: v_dual_fmac_f32 v17, v144, v0
	v_mul_f32_e32 v0, v145, v0
	v_fma_f32 v10, v184, v3, -v2
	s_delay_alu instid0(VALU_DEP_2) | instskip(SKIP_4) | instid1(VALU_DEP_2)
	v_fma_f32 v18, v144, v1, -v0
	ds_load_2addr_stride64_b64 v[0:3], v149 offset0:24 offset1:26
	s_waitcnt lgkmcnt(0)
	v_mul_f32_e32 v19, v147, v3
	v_mul_f32_e32 v31, v157, v1
	v_fmac_f32_e32 v19, v146, v2
	s_delay_alu instid0(VALU_DEP_2) | instskip(SKIP_1) | instid1(VALU_DEP_2)
	v_dual_mul_f32 v2, v147, v2 :: v_dual_fmac_f32 v31, v156, v0
	v_mul_f32_e32 v0, v157, v0
	v_fma_f32 v30, v146, v3, -v2
	s_delay_alu instid0(VALU_DEP_2) | instskip(SKIP_3) | instid1(VALU_DEP_1)
	v_fma_f32 v32, v156, v1, -v0
	ds_load_2addr_stride64_b64 v[0:3], v149 offset0:12 offset1:14
	s_waitcnt lgkmcnt(0)
	v_mul_f32_e32 v36, v155, v3
	v_dual_mul_f32 v51, v163, v1 :: v_dual_fmac_f32 v36, v154, v2
	s_delay_alu instid0(VALU_DEP_1) | instskip(SKIP_1) | instid1(VALU_DEP_2)
	v_dual_mul_f32 v2, v155, v2 :: v_dual_fmac_f32 v51, v162, v0
	v_mul_f32_e32 v0, v163, v0
	v_fma_f32 v50, v154, v3, -v2
	s_delay_alu instid0(VALU_DEP_2) | instskip(SKIP_3) | instid1(VALU_DEP_1)
	v_fma_f32 v52, v162, v1, -v0
	ds_load_2addr_stride64_b64 v[0:3], v149 offset0:20 offset1:22
	s_waitcnt lgkmcnt(0)
	v_mul_f32_e32 v53, v165, v3
	v_dual_mul_f32 v54, v169, v1 :: v_dual_fmac_f32 v53, v164, v2
	v_mul_f32_e32 v2, v165, v2
	s_delay_alu instid0(VALU_DEP_2) | instskip(SKIP_1) | instid1(VALU_DEP_3)
	v_fmac_f32_e32 v54, v168, v0
	v_mul_f32_e32 v0, v169, v0
	v_fma_f32 v2, v164, v3, -v2
	ds_load_2addr_stride64_b64 v[3:6], v149 offset0:8 offset1:10
	v_fma_f32 v0, v168, v1, -v0
	s_waitcnt lgkmcnt(0)
	s_delay_alu instid0(VALU_DEP_1) | instskip(SKIP_1) | instid1(VALU_DEP_2)
	v_dual_sub_f32 v58, v0, v16 :: v_dual_mul_f32 v55, v167, v6
	v_mul_f32_e32 v1, v167, v5
	v_fmac_f32_e32 v55, v166, v5
	s_delay_alu instid0(VALU_DEP_2) | instskip(SKIP_4) | instid1(VALU_DEP_2)
	v_fma_f32 v56, v166, v6, -v1
	ds_load_2addr_stride64_b64 v[5:8], v149 offset1:2
	s_waitcnt lgkmcnt(0)
	v_add_f32_e32 v1, v6, v0
	v_add_f32_e32 v0, v0, v16
	v_add_f32_e32 v57, v1, v16
	v_dual_add_f32 v1, v5, v54 :: v_dual_add_f32 v16, v56, v29
	s_delay_alu instid0(VALU_DEP_3) | instskip(NEXT) | instid1(VALU_DEP_2)
	v_fma_f32 v65, -0.5, v0, v6
	v_add_f32_e32 v59, v1, v15
	v_add_f32_e32 v1, v54, v15
	v_dual_sub_f32 v54, v54, v15 :: v_dual_add_f32 v15, v29, v14
	v_sub_f32_e32 v29, v29, v14
	s_delay_alu instid0(VALU_DEP_3) | instskip(NEXT) | instid1(VALU_DEP_3)
	v_fma_f32 v64, -0.5, v1, v5
	v_dual_fmamk_f32 v67, v54, 0x3f5db3d7, v65 :: v_dual_fmac_f32 v56, -0.5, v15
	v_dual_add_f32 v15, v55, v28 :: v_dual_sub_f32 v28, v28, v13
	v_dual_fmac_f32 v55, -0.5, v60 :: v_dual_add_f32 v60, v16, v14
	s_delay_alu instid0(VALU_DEP_2) | instskip(NEXT) | instid1(VALU_DEP_3)
	v_dual_fmamk_f32 v66, v58, 0xbf5db3d7, v64 :: v_dual_add_f32 v61, v15, v13
	v_fmamk_f32 v13, v28, 0x3f5db3d7, v56
	v_fmac_f32_e32 v56, 0xbf5db3d7, v28
	s_delay_alu instid0(VALU_DEP_4) | instskip(NEXT) | instid1(VALU_DEP_4)
	v_dual_add_f32 v1, v57, v60 :: v_dual_fmac_f32 v64, 0x3f5db3d7, v58
	v_add_f32_e32 v0, v59, v61
	s_delay_alu instid0(VALU_DEP_4)
	v_mul_f32_e32 v62, 0xbf5db3d7, v13
	v_mul_f32_e32 v63, 0.5, v13
	v_fmamk_f32 v13, v29, 0xbf5db3d7, v55
	v_fmac_f32_e32 v55, 0x3f5db3d7, v29
	v_mul_f32_e32 v28, 0xbf5db3d7, v56
	v_mul_f32_e32 v29, -0.5, v56
	s_delay_alu instid0(VALU_DEP_4)
	v_dual_fmac_f32 v65, 0xbf5db3d7, v54 :: v_dual_fmac_f32 v62, 0.5, v13
	v_fmac_f32_e32 v63, 0x3f5db3d7, v13
	ds_load_2addr_stride64_b64 v[13:16], v149 offset0:4 offset1:6
	s_waitcnt lgkmcnt(0)
	s_barrier
	buffer_gl0_inv
	s_clause 0x1
	scratch_load_b32 v68, off, off offset:320
	scratch_load_b32 v56, off, off offset:328
	v_dual_add_f32 v5, v66, v62 :: v_dual_add_f32 v6, v67, v63
	v_fmac_f32_e32 v28, -0.5, v55
	v_fmac_f32_e32 v29, 0x3f5db3d7, v55
	s_waitcnt vmcnt(1)
	ds_store_2addr_b64 v68, v[0:1], v[5:6] offset1:10
	v_dual_sub_f32 v0, v59, v61 :: v_dual_sub_f32 v1, v57, v60
	v_dual_add_f32 v5, v64, v28 :: v_dual_add_f32 v6, v65, v29
	ds_store_2addr_b64 v68, v[5:6], v[0:1] offset0:20 offset1:30
	v_dual_sub_f32 v0, v66, v62 :: v_dual_sub_f32 v1, v67, v63
	v_dual_sub_f32 v5, v64, v28 :: v_dual_sub_f32 v6, v65, v29
	ds_store_2addr_b64 v68, v[0:1], v[5:6] offset0:40 offset1:50
	v_dual_add_f32 v1, v2, v27 :: v_dual_add_f32 v0, v8, v2
	v_dual_sub_f32 v2, v2, v27 :: v_dual_add_f32 v5, v52, v25
	v_add_f32_e32 v6, v24, v48
	s_delay_alu instid0(VALU_DEP_3) | instskip(SKIP_3) | instid1(VALU_DEP_3)
	v_fmac_f32_e32 v8, -0.5, v1
	v_add_f32_e32 v1, v25, v49
	v_dual_add_f32 v27, v0, v27 :: v_dual_add_f32 v0, v7, v53
	v_sub_f32_e32 v25, v25, v49
	v_dual_fmac_f32 v52, -0.5, v1 :: v_dual_add_f32 v1, v51, v24
	v_sub_f32_e32 v24, v24, v48
	s_delay_alu instid0(VALU_DEP_4)
	v_add_f32_e32 v28, v0, v26
	v_add_f32_e32 v0, v53, v26
	v_fmac_f32_e32 v51, -0.5, v6
	v_add_f32_e32 v29, v1, v48
	v_dual_fmamk_f32 v1, v24, 0x3f5db3d7, v52 :: v_dual_sub_f32 v26, v53, v26
	v_add_f32_e32 v48, v5, v49
	v_fma_f32 v7, -0.5, v0, v7
	s_delay_alu instid0(VALU_DEP_4) | instskip(NEXT) | instid1(VALU_DEP_4)
	v_add_f32_e32 v0, v28, v29
	v_mul_f32_e32 v49, 0xbf5db3d7, v1
	v_mul_f32_e32 v53, 0.5, v1
	v_fmamk_f32 v1, v25, 0xbf5db3d7, v51
	v_fmamk_f32 v54, v2, 0xbf5db3d7, v7
	;; [unrolled: 1-line block ×3, first 2 shown]
	v_fmac_f32_e32 v52, 0xbf5db3d7, v24
	v_fmac_f32_e32 v7, 0x3f5db3d7, v2
	v_fmac_f32_e32 v49, 0.5, v1
	v_fmac_f32_e32 v53, 0x3f5db3d7, v1
	v_add_f32_e32 v1, v27, v48
	v_fmac_f32_e32 v51, 0x3f5db3d7, v25
	s_delay_alu instid0(VALU_DEP_4) | instskip(NEXT) | instid1(VALU_DEP_4)
	v_dual_mul_f32 v2, 0xbf5db3d7, v52 :: v_dual_add_f32 v5, v54, v49
	v_add_f32_e32 v6, v55, v53
	v_mul_f32_e32 v24, -0.5, v52
	v_fmac_f32_e32 v8, 0xbf5db3d7, v26
	s_delay_alu instid0(VALU_DEP_4)
	v_fmac_f32_e32 v2, -0.5, v51
	s_waitcnt vmcnt(0)
	ds_store_2addr_b64 v56, v[0:1], v[5:6] offset1:10
	v_sub_f32_e32 v0, v28, v29
	scratch_load_b32 v29, off, off offset:324 ; 4-byte Folded Reload
	v_dual_fmac_f32 v24, 0x3f5db3d7, v51 :: v_dual_sub_f32 v1, v27, v48
	s_delay_alu instid0(VALU_DEP_1)
	v_dual_add_f32 v5, v7, v2 :: v_dual_add_f32 v6, v8, v24
	ds_store_2addr_b64 v56, v[5:6], v[0:1] offset0:20 offset1:30
	v_dual_sub_f32 v1, v8, v24 :: v_dual_sub_f32 v0, v7, v2
	v_sub_f32_e32 v5, v54, v49
	v_sub_f32_e32 v6, v55, v53
	;; [unrolled: 1-line block ×3, first 2 shown]
	ds_store_2addr_b64 v56, v[5:6], v[0:1] offset0:40 offset1:50
	v_dual_add_f32 v0, v14, v32 :: v_dual_add_f32 v5, v23, v47
	v_add_f32_e32 v1, v13, v31
	v_add_f32_e32 v6, v50, v23
	s_delay_alu instid0(VALU_DEP_3)
	v_add_f32_e32 v2, v0, v21
	v_add_f32_e32 v0, v32, v21
	v_dual_fmac_f32 v50, -0.5, v5 :: v_dual_add_f32 v5, v36, v22
	v_add_f32_e32 v21, v22, v46
	v_sub_f32_e32 v22, v22, v46
	v_add_f32_e32 v8, v1, v20
	s_delay_alu instid0(VALU_DEP_4) | instskip(NEXT) | instid1(VALU_DEP_4)
	v_dual_add_f32 v1, v31, v20 :: v_dual_add_f32 v24, v5, v46
	v_dual_fmac_f32 v36, -0.5, v21 :: v_dual_sub_f32 v21, v23, v47
	s_delay_alu instid0(VALU_DEP_4) | instskip(NEXT) | instid1(VALU_DEP_3)
	v_dual_fmamk_f32 v5, v22, 0x3f5db3d7, v50 :: v_dual_sub_f32 v20, v31, v20
	v_fma_f32 v13, -0.5, v1, v13
	v_fma_f32 v14, -0.5, v0, v14
	v_add_f32_e32 v23, v6, v47
	s_delay_alu instid0(VALU_DEP_4) | instskip(SKIP_4) | instid1(VALU_DEP_4)
	v_mul_f32_e32 v25, 0xbf5db3d7, v5
	v_dual_mul_f32 v26, 0.5, v5 :: v_dual_fmamk_f32 v5, v21, 0xbf5db3d7, v36
	v_fmamk_f32 v27, v7, 0xbf5db3d7, v13
	v_fmamk_f32 v28, v20, 0x3f5db3d7, v14
	v_dual_add_f32 v0, v8, v24 :: v_dual_add_f32 v1, v2, v23
	v_fmac_f32_e32 v25, 0.5, v5
	v_fmac_f32_e32 v26, 0x3f5db3d7, v5
	v_fmac_f32_e32 v50, 0xbf5db3d7, v22
	v_dual_fmac_f32 v13, 0x3f5db3d7, v7 :: v_dual_fmac_f32 v36, 0x3f5db3d7, v21
	s_delay_alu instid0(VALU_DEP_3) | instskip(NEXT) | instid1(VALU_DEP_3)
	v_dual_add_f32 v5, v27, v25 :: v_dual_add_f32 v6, v28, v26
	v_dual_mul_f32 v7, -0.5, v50 :: v_dual_fmac_f32 v14, 0xbf5db3d7, v20
	s_delay_alu instid0(VALU_DEP_1)
	v_dual_sub_f32 v20, v33, v45 :: v_dual_fmac_f32 v7, 0x3f5db3d7, v36
	s_waitcnt vmcnt(0)
	ds_store_2addr_b64 v29, v[0:1], v[5:6] offset1:10
	v_dual_sub_f32 v1, v2, v23 :: v_dual_mul_f32 v2, 0xbf5db3d7, v50
	v_sub_f32_e32 v0, v8, v24
	v_add_f32_e32 v6, v14, v7
	s_delay_alu instid0(VALU_DEP_3) | instskip(NEXT) | instid1(VALU_DEP_1)
	v_fmac_f32_e32 v2, -0.5, v36
	v_add_f32_e32 v5, v13, v2
	ds_store_2addr_b64 v29, v[5:6], v[0:1] offset0:20 offset1:30
	v_sub_f32_e32 v1, v28, v26
	scratch_load_b32 v26, off, off offset:316 ; 4-byte Folded Reload
	v_dual_sub_f32 v0, v27, v25 :: v_dual_sub_f32 v5, v13, v2
	v_sub_f32_e32 v6, v14, v7
	v_dual_sub_f32 v14, v38, v44 :: v_dual_sub_f32 v13, v19, v34
	v_sub_f32_e32 v2, v30, v35
	ds_store_2addr_b64 v29, v[0:1], v[5:6] offset0:40 offset1:50
	v_dual_add_f32 v1, v30, v35 :: v_dual_add_f32 v0, v16, v30
	v_add_f32_e32 v5, v18, v33
	v_add_f32_e32 v6, v38, v44
	s_delay_alu instid0(VALU_DEP_3) | instskip(SKIP_3) | instid1(VALU_DEP_4)
	v_fmac_f32_e32 v16, -0.5, v1
	v_add_f32_e32 v1, v33, v45
	v_add_f32_e32 v7, v0, v35
	v_dual_add_f32 v0, v15, v19 :: v_dual_add_f32 v21, v5, v45
	v_fmamk_f32 v25, v13, 0x3f5db3d7, v16
	s_delay_alu instid0(VALU_DEP_4) | instskip(NEXT) | instid1(VALU_DEP_3)
	v_dual_fmac_f32 v18, -0.5, v1 :: v_dual_add_f32 v1, v17, v38
	v_add_f32_e32 v8, v0, v34
	v_add_f32_e32 v0, v19, v34
	v_dual_fmac_f32 v17, -0.5, v6 :: v_dual_fmac_f32 v16, 0xbf5db3d7, v13
	s_delay_alu instid0(VALU_DEP_4) | instskip(SKIP_1) | instid1(VALU_DEP_4)
	v_add_f32_e32 v19, v1, v44
	v_fmamk_f32 v1, v14, 0x3f5db3d7, v18
	v_fma_f32 v15, -0.5, v0, v15
	v_fmac_f32_e32 v18, 0xbf5db3d7, v14
	s_delay_alu instid0(VALU_DEP_4) | instskip(NEXT) | instid1(VALU_DEP_4)
	v_add_f32_e32 v0, v8, v19
	v_mul_f32_e32 v22, 0xbf5db3d7, v1
	v_mul_f32_e32 v23, 0.5, v1
	v_fmamk_f32 v1, v20, 0xbf5db3d7, v17
	v_fmac_f32_e32 v17, 0x3f5db3d7, v20
	scratch_load_b32 v20, off, off offset:332 ; 4-byte Folded Reload
	v_fmamk_f32 v24, v2, 0xbf5db3d7, v15
	v_dual_fmac_f32 v15, 0x3f5db3d7, v2 :: v_dual_fmac_f32 v22, 0.5, v1
	v_fmac_f32_e32 v23, 0x3f5db3d7, v1
	v_dual_add_f32 v1, v7, v21 :: v_dual_mul_f32 v2, 0xbf5db3d7, v18
	s_delay_alu instid0(VALU_DEP_2) | instskip(NEXT) | instid1(VALU_DEP_2)
	v_dual_add_f32 v5, v24, v22 :: v_dual_add_f32 v6, v25, v23
	v_fmac_f32_e32 v2, -0.5, v17
	s_waitcnt vmcnt(1)
	ds_store_2addr_b64 v26, v[0:1], v[5:6] offset1:10
	v_sub_f32_e32 v1, v7, v21
	v_dual_mul_f32 v7, -0.5, v18 :: v_dual_sub_f32 v0, v8, v19
	v_add_f32_e32 v5, v15, v2
	s_delay_alu instid0(VALU_DEP_2) | instskip(NEXT) | instid1(VALU_DEP_1)
	v_fmac_f32_e32 v7, 0x3f5db3d7, v17
	v_add_f32_e32 v6, v16, v7
	ds_store_2addr_b64 v26, v[5:6], v[0:1] offset0:20 offset1:30
	v_dual_sub_f32 v1, v16, v7 :: v_dual_sub_f32 v0, v15, v2
	v_dual_sub_f32 v5, v24, v22 :: v_dual_sub_f32 v6, v25, v23
	v_add_f32_e32 v2, v10, v37
	ds_store_2addr_b64 v26, v[5:6], v[0:1] offset0:40 offset1:50
	v_add_f32_e32 v0, v4, v12
	v_add_f32_e32 v1, v12, v40
	v_dual_sub_f32 v5, v12, v40 :: v_dual_add_f32 v14, v2, v42
	s_delay_alu instid0(VALU_DEP_3) | instskip(NEXT) | instid1(VALU_DEP_3)
	v_add_f32_e32 v6, v0, v40
	v_fmac_f32_e32 v4, -0.5, v1
	v_dual_add_f32 v0, v3, v11 :: v_dual_add_f32 v1, v37, v42
	s_delay_alu instid0(VALU_DEP_1)
	v_dual_fmac_f32 v10, -0.5, v1 :: v_dual_add_f32 v7, v0, v43
	v_add_f32_e32 v0, v11, v43
	v_sub_f32_e32 v8, v11, v43
	v_add_f32_e32 v1, v9, v39
	v_add_f32_e32 v11, v39, v41
	v_sub_f32_e32 v12, v39, v41
	v_fma_f32 v17, -0.5, v0, v3
	v_fmamk_f32 v19, v8, 0x3f5db3d7, v4
	v_add_f32_e32 v13, v1, v41
	v_fmac_f32_e32 v9, -0.5, v11
	v_sub_f32_e32 v11, v37, v42
	v_fmamk_f32 v1, v12, 0x3f5db3d7, v10
	v_fmamk_f32 v18, v5, 0xbf5db3d7, v17
	v_add_f32_e32 v0, v7, v13
	v_fmac_f32_e32 v10, 0xbf5db3d7, v12
	v_fmac_f32_e32 v17, 0x3f5db3d7, v5
	v_mul_f32_e32 v15, 0xbf5db3d7, v1
	v_dual_mul_f32 v16, 0.5, v1 :: v_dual_fmamk_f32 v1, v11, 0xbf5db3d7, v9
	v_fmac_f32_e32 v9, 0x3f5db3d7, v11
	v_dual_mul_f32 v5, 0xbf5db3d7, v10 :: v_dual_fmac_f32 v4, 0xbf5db3d7, v8
	s_delay_alu instid0(VALU_DEP_3) | instskip(NEXT) | instid1(VALU_DEP_4)
	v_fmac_f32_e32 v15, 0.5, v1
	v_dual_fmac_f32 v16, 0x3f5db3d7, v1 :: v_dual_add_f32 v1, v6, v14
	s_delay_alu instid0(VALU_DEP_2) | instskip(NEXT) | instid1(VALU_DEP_2)
	v_dual_fmac_f32 v5, -0.5, v9 :: v_dual_add_f32 v2, v18, v15
	v_add_f32_e32 v3, v19, v16
	s_waitcnt vmcnt(0)
	ds_store_2addr_b64 v20, v[0:1], v[2:3] offset1:10
	v_sub_f32_e32 v1, v6, v14
	v_mul_f32_e32 v6, -0.5, v10
	v_sub_f32_e32 v0, v7, v13
	v_add_f32_e32 v2, v17, v5
	s_delay_alu instid0(VALU_DEP_3) | instskip(NEXT) | instid1(VALU_DEP_1)
	v_fmac_f32_e32 v6, 0x3f5db3d7, v9
	v_add_f32_e32 v3, v4, v6
	ds_store_2addr_b64 v20, v[2:3], v[0:1] offset0:20 offset1:30
	v_dual_sub_f32 v1, v4, v6 :: v_dual_sub_f32 v0, v17, v5
	v_dual_sub_f32 v2, v18, v15 :: v_dual_sub_f32 v3, v19, v16
	ds_store_2addr_b64 v20, v[2:3], v[0:1] offset0:40 offset1:50
	s_waitcnt lgkmcnt(0)
	s_barrier
	buffer_gl0_inv
	scratch_load_b64 v[4:5], off, off offset:344 ; 8-byte Folded Reload
	ds_load_2addr_stride64_b64 v[0:3], v149 offset0:32 offset1:34
	s_waitcnt vmcnt(0) lgkmcnt(0)
	v_mul_f32_e32 v32, v5, v1
	s_delay_alu instid0(VALU_DEP_1) | instskip(SKIP_1) | instid1(VALU_DEP_1)
	v_fmac_f32_e32 v32, v4, v0
	v_mul_f32_e32 v0, v5, v0
	v_fma_f32 v33, v4, v1, -v0
	scratch_load_b64 v[4:5], off, off offset:336 ; 8-byte Folded Reload
	s_waitcnt vmcnt(0)
	v_mul_f32_e32 v34, v5, v3
	v_mul_f32_e32 v0, v5, v2
	s_delay_alu instid0(VALU_DEP_2) | instskip(NEXT) | instid1(VALU_DEP_2)
	v_fmac_f32_e32 v34, v4, v2
	v_fma_f32 v35, v4, v3, -v0
	scratch_load_b64 v[4:5], off, off offset:352 ; 8-byte Folded Reload
	ds_load_2addr_stride64_b64 v[0:3], v149 offset0:36 offset1:38
	s_waitcnt vmcnt(0) lgkmcnt(0)
	v_mul_f32_e32 v36, v5, v1
	s_delay_alu instid0(VALU_DEP_1) | instskip(SKIP_1) | instid1(VALU_DEP_1)
	v_fmac_f32_e32 v36, v4, v0
	v_mul_f32_e32 v0, v5, v0
	v_fma_f32 v37, v4, v1, -v0
	scratch_load_b64 v[4:5], off, off offset:376 ; 8-byte Folded Reload
	s_waitcnt vmcnt(0)
	v_mul_f32_e32 v38, v5, v3
	v_mul_f32_e32 v0, v5, v2
	s_delay_alu instid0(VALU_DEP_2) | instskip(NEXT) | instid1(VALU_DEP_2)
	v_fmac_f32_e32 v38, v4, v2
	v_fma_f32 v39, v4, v3, -v0
	;; [unrolled: 15-line block ×7, first 2 shown]
	scratch_load_b64 v[4:5], off, off offset:424 ; 8-byte Folded Reload
	ds_load_2addr_stride64_b64 v[0:3], v149 offset0:28 offset1:30
	s_waitcnt vmcnt(0) lgkmcnt(0)
	v_mul_f32_e32 v6, v5, v3
	s_delay_alu instid0(VALU_DEP_1) | instskip(SKIP_1) | instid1(VALU_DEP_1)
	v_fmac_f32_e32 v6, v4, v2
	v_mul_f32_e32 v2, v5, v2
	v_fma_f32 v7, v4, v3, -v2
	ds_load_2addr_stride64_b64 v[2:5], v149 offset1:2
	s_waitcnt lgkmcnt(0)
	v_dual_sub_f32 v30, v2, v6 :: v_dual_sub_f32 v31, v3, v7
	ds_load_2addr_stride64_b64 v[6:9], v149 offset0:4 offset1:6
	ds_load_2addr_stride64_b64 v[10:13], v149 offset0:8 offset1:10
	;; [unrolled: 1-line block ×6, first 2 shown]
	s_waitcnt lgkmcnt(0)
	s_barrier
	buffer_gl0_inv
	scratch_load_b32 v60, off, off offset:484 ; 4-byte Folded Reload
	v_fma_f32 v2, v2, 2.0, -v30
	v_fma_f32 v3, v3, 2.0, -v31
	s_waitcnt vmcnt(0)
	ds_store_2addr_b64 v60, v[2:3], v[30:31] offset1:60
	scratch_load_b32 v30, off, off offset:480 ; 4-byte Folded Reload
	v_dual_sub_f32 v2, v4, v32 :: v_dual_sub_f32 v3, v5, v33
	s_delay_alu instid0(VALU_DEP_1) | instskip(NEXT) | instid1(VALU_DEP_2)
	v_fma_f32 v4, v4, 2.0, -v2
	v_fma_f32 v5, v5, 2.0, -v3
	s_waitcnt vmcnt(0)
	ds_store_2addr_b64 v30, v[4:5], v[2:3] offset1:60
	v_dual_sub_f32 v2, v6, v34 :: v_dual_sub_f32 v3, v7, v35
	s_delay_alu instid0(VALU_DEP_1)
	v_fma_f32 v4, v6, 2.0, -v2
	scratch_load_b32 v6, off, off offset:476 ; 4-byte Folded Reload
	v_fma_f32 v5, v7, 2.0, -v3
	s_waitcnt vmcnt(0)
	ds_store_2addr_b64 v6, v[4:5], v[2:3] offset1:60
	scratch_load_b32 v6, off, off offset:472 ; 4-byte Folded Reload
	v_dual_sub_f32 v2, v8, v36 :: v_dual_sub_f32 v3, v9, v37
	s_delay_alu instid0(VALU_DEP_1) | instskip(NEXT) | instid1(VALU_DEP_2)
	v_fma_f32 v4, v8, 2.0, -v2
	v_fma_f32 v5, v9, 2.0, -v3
	s_waitcnt vmcnt(0)
	ds_store_2addr_b64 v6, v[4:5], v[2:3] offset1:60
	scratch_load_b32 v6, off, off offset:468 ; 4-byte Folded Reload
	v_dual_sub_f32 v2, v10, v38 :: v_dual_sub_f32 v3, v11, v39
	s_delay_alu instid0(VALU_DEP_1) | instskip(NEXT) | instid1(VALU_DEP_2)
	v_fma_f32 v4, v10, 2.0, -v2
	;; [unrolled: 7-line block ×12, first 2 shown]
	v_fma_f32 v1, v1, 2.0, -v3
	s_waitcnt vmcnt(0)
	ds_store_2addr_b64 v4, v[0:1], v[2:3] offset1:60
	s_waitcnt lgkmcnt(0)
	s_barrier
	buffer_gl0_inv
	scratch_load_b64 v[4:5], off, off offset:524 ; 8-byte Folded Reload
	ds_load_2addr_stride64_b64 v[0:3], v149 offset0:32 offset1:34
	s_waitcnt vmcnt(0) lgkmcnt(0)
	v_mul_f32_e32 v32, v5, v1
	s_delay_alu instid0(VALU_DEP_1) | instskip(SKIP_1) | instid1(VALU_DEP_1)
	v_fmac_f32_e32 v32, v4, v0
	v_mul_f32_e32 v0, v5, v0
	v_fma_f32 v33, v4, v1, -v0
	scratch_load_b64 v[4:5], off, off offset:516 ; 8-byte Folded Reload
	s_waitcnt vmcnt(0)
	v_mul_f32_e32 v34, v5, v3
	v_mul_f32_e32 v0, v5, v2
	s_delay_alu instid0(VALU_DEP_2) | instskip(NEXT) | instid1(VALU_DEP_2)
	v_fmac_f32_e32 v34, v4, v2
	v_fma_f32 v35, v4, v3, -v0
	scratch_load_b64 v[4:5], off, off offset:532 ; 8-byte Folded Reload
	ds_load_2addr_stride64_b64 v[0:3], v149 offset0:36 offset1:38
	s_waitcnt vmcnt(0) lgkmcnt(0)
	v_mul_f32_e32 v36, v5, v1
	s_delay_alu instid0(VALU_DEP_1) | instskip(SKIP_1) | instid1(VALU_DEP_1)
	v_fmac_f32_e32 v36, v4, v0
	v_mul_f32_e32 v0, v5, v0
	v_fma_f32 v37, v4, v1, -v0
	scratch_load_b64 v[4:5], off, off offset:556 ; 8-byte Folded Reload
	s_waitcnt vmcnt(0)
	v_mul_f32_e32 v38, v5, v3
	v_mul_f32_e32 v0, v5, v2
	s_delay_alu instid0(VALU_DEP_2) | instskip(NEXT) | instid1(VALU_DEP_2)
	v_fmac_f32_e32 v38, v4, v2
	v_fma_f32 v39, v4, v3, -v0
	;; [unrolled: 15-line block ×5, first 2 shown]
	scratch_load_b64 v[4:5], off, off offset:628 ; 8-byte Folded Reload
	ds_load_2addr_stride64_b64 v[0:3], v149 offset0:52 offset1:54
	s_waitcnt lgkmcnt(0)
	v_mul_f32_e32 v54, v207, v3
	s_delay_alu instid0(VALU_DEP_1) | instskip(SKIP_2) | instid1(VALU_DEP_1)
	v_fmac_f32_e32 v54, v206, v2
	s_waitcnt vmcnt(0)
	v_mul_f32_e32 v52, v5, v1
	v_fmac_f32_e32 v52, v4, v0
	v_mul_f32_e32 v0, v5, v0
	s_delay_alu instid0(VALU_DEP_1) | instskip(SKIP_2) | instid1(VALU_DEP_1)
	v_fma_f32 v53, v4, v1, -v0
	scratch_load_b64 v[4:5], off, off offset:636 ; 8-byte Folded Reload
	v_mul_f32_e32 v0, v207, v2
	v_fma_f32 v55, v206, v3, -v0
	ds_load_2addr_stride64_b64 v[0:3], v149 offset0:56 offset1:58
	s_waitcnt lgkmcnt(0)
	v_mul_f32_e32 v56, v205, v1
	v_mul_f32_e32 v58, v203, v3
	s_delay_alu instid0(VALU_DEP_2) | instskip(SKIP_1) | instid1(VALU_DEP_3)
	v_fmac_f32_e32 v56, v204, v0
	v_mul_f32_e32 v0, v205, v0
	v_fmac_f32_e32 v58, v202, v2
	s_delay_alu instid0(VALU_DEP_2) | instskip(SKIP_1) | instid1(VALU_DEP_1)
	v_fma_f32 v57, v204, v1, -v0
	v_mul_f32_e32 v0, v203, v2
	v_fma_f32 v59, v202, v3, -v0
	ds_load_2addr_stride64_b64 v[0:3], v149 offset0:28 offset1:30
	s_waitcnt vmcnt(0) lgkmcnt(0)
	v_mul_f32_e32 v6, v5, v3
	s_delay_alu instid0(VALU_DEP_1) | instskip(SKIP_1) | instid1(VALU_DEP_1)
	v_fmac_f32_e32 v6, v4, v2
	v_mul_f32_e32 v2, v5, v2
	v_fma_f32 v7, v4, v3, -v2
	ds_load_2addr_stride64_b64 v[2:5], v149 offset1:2
	s_waitcnt lgkmcnt(0)
	v_dual_sub_f32 v30, v2, v6 :: v_dual_sub_f32 v31, v3, v7
	ds_load_2addr_stride64_b64 v[6:9], v149 offset0:4 offset1:6
	ds_load_2addr_stride64_b64 v[10:13], v149 offset0:8 offset1:10
	ds_load_2addr_stride64_b64 v[14:17], v149 offset0:12 offset1:14
	ds_load_2addr_stride64_b64 v[18:21], v149 offset0:16 offset1:18
	ds_load_2addr_stride64_b64 v[22:25], v149 offset0:20 offset1:22
	ds_load_2addr_stride64_b64 v[26:29], v149 offset0:24 offset1:26
	s_waitcnt lgkmcnt(0)
	s_barrier
	buffer_gl0_inv
	scratch_load_b32 v60, off, off offset:668 ; 4-byte Folded Reload
	v_fma_f32 v2, v2, 2.0, -v30
	v_fma_f32 v3, v3, 2.0, -v31
	s_waitcnt vmcnt(0)
	ds_store_2addr_b64 v60, v[2:3], v[30:31] offset1:120
	scratch_load_b32 v30, off, off offset:664 ; 4-byte Folded Reload
	v_dual_sub_f32 v2, v4, v32 :: v_dual_sub_f32 v3, v5, v33
	v_add_nc_u32_e32 v60, 0x800, v149
	s_delay_alu instid0(VALU_DEP_2) | instskip(NEXT) | instid1(VALU_DEP_3)
	v_fma_f32 v4, v4, 2.0, -v2
	v_fma_f32 v5, v5, 2.0, -v3
	s_waitcnt vmcnt(0)
	ds_store_2addr_b64 v30, v[4:5], v[2:3] offset1:120
	v_dual_sub_f32 v2, v6, v34 :: v_dual_sub_f32 v3, v7, v35
	s_delay_alu instid0(VALU_DEP_1)
	v_fma_f32 v4, v6, 2.0, -v2
	scratch_load_b32 v6, off, off offset:660 ; 4-byte Folded Reload
	v_fma_f32 v5, v7, 2.0, -v3
	s_waitcnt vmcnt(0)
	ds_store_2addr_b64 v6, v[4:5], v[2:3] offset1:120
	scratch_load_b32 v6, off, off offset:656 ; 4-byte Folded Reload
	v_dual_sub_f32 v2, v8, v36 :: v_dual_sub_f32 v3, v9, v37
	s_delay_alu instid0(VALU_DEP_1) | instskip(NEXT) | instid1(VALU_DEP_2)
	v_fma_f32 v4, v8, 2.0, -v2
	v_fma_f32 v5, v9, 2.0, -v3
	s_waitcnt vmcnt(0)
	ds_store_2addr_b64 v6, v[4:5], v[2:3] offset1:120
	scratch_load_b32 v6, off, off offset:652 ; 4-byte Folded Reload
	v_dual_sub_f32 v2, v10, v38 :: v_dual_sub_f32 v3, v11, v39
	s_delay_alu instid0(VALU_DEP_1) | instskip(NEXT) | instid1(VALU_DEP_2)
	v_fma_f32 v4, v10, 2.0, -v2
	;; [unrolled: 7-line block ×12, first 2 shown]
	v_fma_f32 v1, v1, 2.0, -v3
	s_waitcnt vmcnt(0)
	ds_store_2addr_b64 v4, v[0:1], v[2:3] offset1:120
	s_waitcnt lgkmcnt(0)
	s_barrier
	buffer_gl0_inv
	ds_load_2addr_stride64_b64 v[0:3], v149 offset0:32 offset1:34
	s_waitcnt lgkmcnt(0)
	v_mul_f32_e32 v6, v209, v1
	v_mul_f32_e32 v34, v213, v3
	s_delay_alu instid0(VALU_DEP_2) | instskip(SKIP_1) | instid1(VALU_DEP_3)
	v_fmac_f32_e32 v6, v208, v0
	v_mul_f32_e32 v0, v209, v0
	v_fmac_f32_e32 v34, v212, v2
	s_delay_alu instid0(VALU_DEP_2) | instskip(SKIP_1) | instid1(VALU_DEP_1)
	v_fma_f32 v7, v208, v1, -v0
	v_mul_f32_e32 v0, v213, v2
	v_fma_f32 v35, v212, v3, -v0
	ds_load_2addr_stride64_b64 v[0:3], v149 offset0:36 offset1:38
	s_waitcnt lgkmcnt(0)
	v_mul_f32_e32 v36, v211, v1
	v_mul_f32_e32 v38, v233, v3
	s_delay_alu instid0(VALU_DEP_2) | instskip(SKIP_1) | instid1(VALU_DEP_3)
	v_fmac_f32_e32 v36, v210, v0
	v_mul_f32_e32 v0, v211, v0
	v_fmac_f32_e32 v38, v232, v2
	s_delay_alu instid0(VALU_DEP_2) | instskip(SKIP_1) | instid1(VALU_DEP_1)
	v_fma_f32 v37, v210, v1, -v0
	v_mul_f32_e32 v0, v233, v2
	v_fma_f32 v39, v232, v3, -v0
	;; [unrolled: 12-line block ×7, first 2 shown]
	ds_load_2addr_stride64_b64 v[0:3], v149 offset0:28 offset1:30
	s_waitcnt lgkmcnt(0)
	v_mul_f32_e32 v8, v215, v3
	s_delay_alu instid0(VALU_DEP_1) | instskip(SKIP_1) | instid1(VALU_DEP_1)
	v_fmac_f32_e32 v8, v214, v2
	v_mul_f32_e32 v2, v215, v2
	v_fma_f32 v9, v214, v3, -v2
	ds_load_2addr_stride64_b64 v[2:5], v149 offset1:2
	s_waitcnt lgkmcnt(0)
	v_dual_sub_f32 v26, v2, v8 :: v_dual_sub_f32 v27, v3, v9
	v_dual_sub_f32 v28, v4, v6 :: v_dual_sub_f32 v29, v5, v7
	s_delay_alu instid0(VALU_DEP_2) | instskip(NEXT) | instid1(VALU_DEP_3)
	v_fma_f32 v30, v2, 2.0, -v26
	v_fma_f32 v31, v3, 2.0, -v27
	s_delay_alu instid0(VALU_DEP_3) | instskip(NEXT) | instid1(VALU_DEP_4)
	v_fma_f32 v32, v4, 2.0, -v28
	v_fma_f32 v33, v5, 2.0, -v29
	ds_load_2addr_stride64_b64 v[2:5], v149 offset0:4 offset1:6
	ds_load_2addr_stride64_b64 v[6:9], v149 offset0:8 offset1:10
	;; [unrolled: 1-line block ×6, first 2 shown]
	s_waitcnt lgkmcnt(0)
	s_barrier
	buffer_gl0_inv
	ds_store_2addr_b64 v149, v[30:31], v[26:27] offset1:240
	scratch_load_b32 v26, off, off offset:720 ; 4-byte Folded Reload
	v_sub_f32_e32 v27, v3, v35
	s_delay_alu instid0(VALU_DEP_1) | instskip(SKIP_4) | instid1(VALU_DEP_2)
	v_fma_f32 v3, v3, 2.0, -v27
	s_waitcnt vmcnt(0)
	ds_store_2addr_b64 v26, v[32:33], v[28:29] offset1:240
	v_sub_f32_e32 v26, v2, v34
	v_add_nc_u32_e32 v28, 0xf80, v149
	v_fma_f32 v2, v2, 2.0, -v26
	ds_store_2addr_b64 v28, v[2:3], v[26:27] offset1:240
	scratch_load_b32 v26, off, off offset:716 ; 4-byte Folded Reload
	v_dual_sub_f32 v2, v4, v36 :: v_dual_sub_f32 v3, v5, v37
	s_delay_alu instid0(VALU_DEP_1) | instskip(NEXT) | instid1(VALU_DEP_2)
	v_fma_f32 v4, v4, 2.0, -v2
	v_fma_f32 v5, v5, 2.0, -v3
	s_waitcnt vmcnt(0)
	ds_store_2addr_b64 v26, v[4:5], v[2:3] offset1:240
	v_dual_sub_f32 v2, v6, v38 :: v_dual_sub_f32 v3, v7, v39
	s_delay_alu instid0(VALU_DEP_1)
	v_fma_f32 v4, v6, 2.0, -v2
	scratch_load_b32 v6, off, off offset:712 ; 4-byte Folded Reload
	v_fma_f32 v5, v7, 2.0, -v3
	s_waitcnt vmcnt(0)
	ds_store_2addr_b64 v6, v[4:5], v[2:3] offset1:240
	scratch_load_b32 v6, off, off offset:708 ; 4-byte Folded Reload
	v_dual_sub_f32 v2, v8, v40 :: v_dual_sub_f32 v3, v9, v41
	s_delay_alu instid0(VALU_DEP_1) | instskip(NEXT) | instid1(VALU_DEP_2)
	v_fma_f32 v4, v8, 2.0, -v2
	v_fma_f32 v5, v9, 2.0, -v3
	s_waitcnt vmcnt(0)
	ds_store_2addr_b64 v6, v[4:5], v[2:3] offset1:240
	scratch_load_b32 v6, off, off offset:704 ; 4-byte Folded Reload
	v_dual_sub_f32 v2, v10, v42 :: v_dual_sub_f32 v3, v11, v43
	s_delay_alu instid0(VALU_DEP_1) | instskip(NEXT) | instid1(VALU_DEP_2)
	v_fma_f32 v4, v10, 2.0, -v2
	;; [unrolled: 7-line block ×10, first 2 shown]
	v_fma_f32 v1, v1, 2.0, -v3
	s_waitcnt vmcnt(0)
	ds_store_2addr_b64 v4, v[0:1], v[2:3] offset1:240
	s_waitcnt lgkmcnt(0)
	s_barrier
	buffer_gl0_inv
	ds_load_2addr_stride64_b64 v[0:3], v149 offset0:32 offset1:34
	s_waitcnt lgkmcnt(0)
	v_mul_f32_e32 v34, v249, v1
	v_mul_f32_e32 v6, v247, v3
	s_delay_alu instid0(VALU_DEP_2) | instskip(SKIP_1) | instid1(VALU_DEP_3)
	v_fmac_f32_e32 v34, v248, v0
	v_mul_f32_e32 v0, v249, v0
	v_fmac_f32_e32 v6, v246, v2
	s_delay_alu instid0(VALU_DEP_2) | instskip(SKIP_1) | instid1(VALU_DEP_1)
	v_fma_f32 v35, v248, v1, -v0
	v_mul_f32_e32 v0, v247, v2
	v_fma_f32 v7, v246, v3, -v0
	ds_load_2addr_stride64_b64 v[0:3], v149 offset0:36 offset1:38
	s_waitcnt lgkmcnt(0)
	v_mul_f32_e32 v36, v251, v1
	v_mul_f32_e32 v38, v245, v3
	s_delay_alu instid0(VALU_DEP_2) | instskip(SKIP_1) | instid1(VALU_DEP_3)
	v_fmac_f32_e32 v36, v250, v0
	v_mul_f32_e32 v0, v251, v0
	v_fmac_f32_e32 v38, v244, v2
	s_delay_alu instid0(VALU_DEP_2) | instskip(SKIP_1) | instid1(VALU_DEP_1)
	v_fma_f32 v37, v250, v1, -v0
	v_mul_f32_e32 v0, v245, v2
	v_fma_f32 v39, v244, v3, -v0
	;; [unrolled: 12-line block ×7, first 2 shown]
	ds_load_2addr_stride64_b64 v[0:3], v149 offset0:28 offset1:30
	s_waitcnt lgkmcnt(0)
	v_mul_f32_e32 v10, v253, v3
	s_delay_alu instid0(VALU_DEP_1) | instskip(SKIP_1) | instid1(VALU_DEP_1)
	v_fmac_f32_e32 v10, v252, v2
	v_mul_f32_e32 v2, v253, v2
	v_fma_f32 v11, v252, v3, -v2
	ds_load_2addr_stride64_b64 v[2:5], v149 offset0:4 offset1:6
	s_waitcnt lgkmcnt(0)
	v_dual_sub_f32 v30, v2, v6 :: v_dual_sub_f32 v31, v3, v7
	ds_load_2addr_stride64_b64 v[6:9], v149 offset1:2
	v_fma_f32 v2, v2, 2.0, -v30
	v_fma_f32 v3, v3, 2.0, -v31
	s_waitcnt lgkmcnt(0)
	v_dual_sub_f32 v32, v6, v10 :: v_dual_sub_f32 v33, v7, v11
	ds_load_2addr_stride64_b64 v[10:13], v149 offset0:8 offset1:10
	ds_load_2addr_stride64_b64 v[14:17], v149 offset0:12 offset1:14
	;; [unrolled: 1-line block ×5, first 2 shown]
	s_waitcnt lgkmcnt(0)
	s_barrier
	buffer_gl0_inv
	ds_store_2addr_b64 v60, v[2:3], v[32:33] offset1:224
	v_fma_f32 v2, v6, 2.0, -v32
	v_fma_f32 v3, v7, 2.0, -v33
	v_dual_sub_f32 v6, v8, v34 :: v_dual_sub_f32 v7, v9, v35
	v_dual_sub_f32 v32, v4, v36 :: v_dual_sub_f32 v33, v5, v37
	s_delay_alu instid0(VALU_DEP_2) | instskip(NEXT) | instid1(VALU_DEP_3)
	v_fma_f32 v8, v8, 2.0, -v6
	v_fma_f32 v9, v9, 2.0, -v7
	s_delay_alu instid0(VALU_DEP_3) | instskip(NEXT) | instid1(VALU_DEP_4)
	v_fma_f32 v4, v4, 2.0, -v32
	v_fma_f32 v5, v5, 2.0, -v33
	v_dual_sub_f32 v34, v10, v38 :: v_dual_sub_f32 v35, v11, v39
	ds_store_2addr_stride64_b64 v149, v[2:3], v[8:9] offset1:2
	scratch_load_b32 v3, off, off offset:756 ; 4-byte Folded Reload
	v_dual_sub_f32 v36, v12, v40 :: v_dual_sub_f32 v37, v13, v41
	v_add_nc_u32_e32 v2, 0x100, v149
	v_fma_f32 v10, v10, 2.0, -v34
	v_fma_f32 v11, v11, 2.0, -v35
	s_delay_alu instid0(VALU_DEP_4)
	v_fma_f32 v12, v12, 2.0, -v36
	v_fma_f32 v13, v13, 2.0, -v37
	ds_store_2addr_stride64_b64 v2, v[6:7], v[30:31] offset0:9 offset1:11
	s_waitcnt vmcnt(0)
	ds_store_b64 v3, v[4:5]
	ds_store_b64 v3, v[32:33] offset:3840
	ds_store_2addr_stride64_b64 v2, v[10:11], v[12:13] offset0:15 offset1:17
	v_dual_sub_f32 v2, v14, v42 :: v_dual_sub_f32 v3, v15, v43
	v_add_nc_u32_e32 v6, 0x2700, v149
	v_dual_sub_f32 v8, v18, v46 :: v_dual_sub_f32 v9, v19, v47
	s_delay_alu instid0(VALU_DEP_3)
	v_fma_f32 v4, v14, 2.0, -v2
	ds_store_2addr_stride64_b64 v149, v[36:37], v[2:3] offset0:25 offset1:27
	scratch_load_b32 v2, off, off offset:736 ; 4-byte Folded Reload
	v_fma_f32 v5, v15, 2.0, -v3
	v_fma_f32 v12, v18, 2.0, -v8
	;; [unrolled: 1-line block ×3, first 2 shown]
	v_dual_sub_f32 v10, v20, v48 :: v_dual_sub_f32 v11, v21, v49
	ds_store_2addr_b64 v6, v[4:5], v[34:35] offset1:224
	v_dual_sub_f32 v4, v16, v44 :: v_dual_sub_f32 v5, v17, v45
	v_fma_f32 v14, v20, 2.0, -v10
	v_fma_f32 v15, v21, 2.0, -v11
	v_sub_f32_e32 v18, v24, v52
	s_delay_alu instid0(VALU_DEP_4)
	v_fma_f32 v6, v16, 2.0, -v4
	v_fma_f32 v7, v17, 2.0, -v5
	s_waitcnt vmcnt(0)
	ds_store_b64 v2, v[6:7]
	ds_store_b64 v2, v[4:5] offset:3840
	scratch_load_b32 v2, off, off offset:732 ; 4-byte Folded Reload
	s_waitcnt vmcnt(0)
	ds_store_b64 v2, v[12:13] offset:15360
	ds_store_b64 v2, v[8:9] offset:19200
	scratch_load_b32 v2, off, off offset:728 ; 4-byte Folded Reload
	s_waitcnt vmcnt(0)
	ds_store_b64 v2, v[14:15] offset:15360
	ds_store_b64 v2, v[10:11] offset:19200
	scratch_load_b32 v2, off, off offset:724 ; 4-byte Folded Reload
	v_dual_sub_f32 v16, v22, v50 :: v_dual_sub_f32 v17, v23, v51
	v_dual_sub_f32 v19, v25, v53 :: v_dual_sub_f32 v30, v28, v56
	v_sub_f32_e32 v31, v29, v57
	s_delay_alu instid0(VALU_DEP_3) | instskip(NEXT) | instid1(VALU_DEP_4)
	v_fma_f32 v20, v22, 2.0, -v16
	v_fma_f32 v21, v23, 2.0, -v17
	s_waitcnt vmcnt(0)
	ds_store_b64 v2, v[20:21] offset:15360
	ds_store_b64 v2, v[16:17] offset:19200
	scratch_load_b32 v2, off, off offset:752 ; 4-byte Folded Reload
	v_fma_f32 v22, v24, 2.0, -v18
	v_fma_f32 v23, v25, 2.0, -v19
	s_waitcnt vmcnt(0)
	ds_store_b64 v2, v[22:23]
	ds_store_b64 v2, v[18:19] offset:3840
	scratch_load_b32 v2, off, off offset:748 ; 4-byte Folded Reload
	v_dual_sub_f32 v24, v26, v54 :: v_dual_sub_f32 v25, v27, v55
	v_fma_f32 v28, v28, 2.0, -v30
	v_fma_f32 v29, v29, 2.0, -v31
	v_sub_f32_e32 v32, v0, v58
	s_delay_alu instid0(VALU_DEP_4)
	v_fma_f32 v26, v26, 2.0, -v24
	v_fma_f32 v27, v27, 2.0, -v25
	s_waitcnt vmcnt(0)
	ds_store_b64 v2, v[26:27] offset:23040
	ds_store_b64 v2, v[24:25] offset:26880
	scratch_load_b32 v2, off, off offset:744 ; 4-byte Folded Reload
	s_waitcnt vmcnt(0)
	ds_store_b64 v2, v[28:29] offset:23040
	ds_store_b64 v2, v[30:31] offset:26880
	scratch_load_b32 v2, off, off offset:740 ; 4-byte Folded Reload
	v_sub_f32_e32 v33, v1, v59
	v_fma_f32 v0, v0, 2.0, -v32
	s_delay_alu instid0(VALU_DEP_2)
	v_fma_f32 v1, v1, 2.0, -v33
	s_waitcnt vmcnt(0)
	ds_store_b64 v2, v[0:1] offset:23040
	ds_store_b64 v2, v[32:33] offset:26880
	s_waitcnt lgkmcnt(0)
	s_barrier
	buffer_gl0_inv
	ds_load_2addr_stride64_b64 v[0:3], v149 offset0:32 offset1:34
	s_waitcnt lgkmcnt(0)
	v_mul_f32_e32 v6, v255, v1
	v_mul_f32_e32 v8, v122, v3
	s_delay_alu instid0(VALU_DEP_2) | instskip(SKIP_1) | instid1(VALU_DEP_3)
	v_fmac_f32_e32 v6, v254, v0
	v_mul_f32_e32 v0, v255, v0
	v_fmac_f32_e32 v8, v121, v2
	s_delay_alu instid0(VALU_DEP_2) | instskip(SKIP_1) | instid1(VALU_DEP_1)
	v_fma_f32 v7, v254, v1, -v0
	v_mul_f32_e32 v0, v122, v2
	v_fma_f32 v9, v121, v3, -v0
	ds_load_2addr_stride64_b64 v[0:3], v149 offset0:36 offset1:38
	s_waitcnt lgkmcnt(0)
	v_mul_f32_e32 v10, v116, v1
	v_mul_f32_e32 v12, v118, v3
	s_delay_alu instid0(VALU_DEP_2) | instskip(SKIP_1) | instid1(VALU_DEP_3)
	v_fmac_f32_e32 v10, v115, v0
	v_mul_f32_e32 v0, v116, v0
	v_fmac_f32_e32 v12, v117, v2
	s_delay_alu instid0(VALU_DEP_2) | instskip(SKIP_1) | instid1(VALU_DEP_1)
	v_fma_f32 v11, v115, v1, -v0
	v_mul_f32_e32 v0, v118, v2
	v_fma_f32 v13, v117, v3, -v0
	;; [unrolled: 12-line block ×7, first 2 shown]
	ds_load_2addr_stride64_b64 v[0:3], v149 offset0:28 offset1:30
	s_waitcnt lgkmcnt(0)
	v_mul_f32_e32 v14, v126, v3
	s_delay_alu instid0(VALU_DEP_1) | instskip(SKIP_1) | instid1(VALU_DEP_1)
	v_fmac_f32_e32 v14, v125, v2
	v_mul_f32_e32 v2, v126, v2
	v_fma_f32 v15, v125, v3, -v2
	ds_load_2addr_stride64_b64 v[2:5], v149 offset1:2
	s_waitcnt lgkmcnt(0)
	v_dual_sub_f32 v14, v2, v14 :: v_dual_sub_f32 v15, v3, v15
	v_dual_sub_f32 v16, v4, v6 :: v_dual_sub_f32 v17, v5, v7
	s_delay_alu instid0(VALU_DEP_2) | instskip(NEXT) | instid1(VALU_DEP_3)
	v_fma_f32 v18, v2, 2.0, -v14
	v_fma_f32 v19, v3, 2.0, -v15
	s_delay_alu instid0(VALU_DEP_3) | instskip(NEXT) | instid1(VALU_DEP_4)
	v_fma_f32 v20, v4, 2.0, -v16
	v_fma_f32 v21, v5, 2.0, -v17
	ds_load_2addr_stride64_b64 v[2:5], v149 offset0:4 offset1:6
	s_waitcnt lgkmcnt(0)
	v_dual_sub_f32 v22, v2, v8 :: v_dual_sub_f32 v23, v3, v9
	v_dual_sub_f32 v24, v4, v10 :: v_dual_sub_f32 v25, v5, v11
	s_delay_alu instid0(VALU_DEP_2) | instskip(NEXT) | instid1(VALU_DEP_3)
	v_fma_f32 v26, v2, 2.0, -v22
	v_fma_f32 v27, v3, 2.0, -v23
	s_delay_alu instid0(VALU_DEP_3) | instskip(NEXT) | instid1(VALU_DEP_4)
	v_fma_f32 v28, v4, 2.0, -v24
	v_fma_f32 v29, v5, 2.0, -v25
	ds_load_2addr_stride64_b64 v[2:5], v149 offset0:8 offset1:10
	;; [unrolled: 10-line block ×4, first 2 shown]
	ds_load_2addr_stride64_b64 v[6:9], v149 offset0:20 offset1:22
	ds_load_2addr_stride64_b64 v[10:13], v149 offset0:24 offset1:26
	s_waitcnt lgkmcnt(0)
	s_barrier
	buffer_gl0_inv
	ds_store_2addr_stride64_b64 v149, v[18:19], v[20:21] offset1:2
	ds_store_2addr_stride64_b64 v149, v[16:17], v[22:23] offset0:17 offset1:19
	ds_store_2addr_stride64_b64 v149, v[26:27], v[28:29] offset0:4 offset1:6
	;; [unrolled: 1-line block ×6, first 2 shown]
	scratch_load_b32 v14, off, off offset:760 ; 4-byte Folded Reload
	v_dual_sub_f32 v26, v0, v58 :: v_dual_sub_f32 v27, v1, v59
	s_delay_alu instid0(VALU_DEP_1) | instskip(NEXT) | instid1(VALU_DEP_2)
	v_fma_f32 v0, v0, 2.0, -v26
	v_fma_f32 v1, v1, 2.0, -v27
	v_dual_sub_f32 v15, v3, v47 :: v_dual_sub_f32 v16, v4, v48
	v_dual_sub_f32 v17, v5, v49 :: v_dual_sub_f32 v18, v6, v50
	;; [unrolled: 1-line block ×5, first 2 shown]
	v_sub_f32_e32 v25, v13, v57
	v_fma_f32 v3, v3, 2.0, -v15
	v_fma_f32 v4, v4, 2.0, -v16
	;; [unrolled: 1-line block ×11, first 2 shown]
	s_waitcnt vmcnt(0)
	ds_store_2addr_stride64_b64 v14, v[44:45], v[40:41] offset1:15
	v_sub_f32_e32 v14, v2, v46
	s_delay_alu instid0(VALU_DEP_1)
	v_fma_f32 v2, v2, 2.0, -v14
	ds_store_2addr_stride64_b64 v149, v[2:3], v[4:5] offset0:31 offset1:33
	ds_store_2addr_stride64_b64 v149, v[16:17], v[18:19] offset0:48 offset1:50
	;; [unrolled: 1-line block ×7, first 2 shown]
	s_waitcnt lgkmcnt(0)
	s_barrier
	buffer_gl0_inv
	ds_load_2addr_stride64_b64 v[0:3], v149 offset0:32 offset1:34
	s_waitcnt lgkmcnt(0)
	v_mul_f32_e32 v8, v124, v1
	v_mul_f32_e32 v14, v120, v3
	s_delay_alu instid0(VALU_DEP_2) | instskip(SKIP_1) | instid1(VALU_DEP_3)
	v_fmac_f32_e32 v8, v123, v0
	v_mul_f32_e32 v0, v124, v0
	v_fmac_f32_e32 v14, v119, v2
	s_delay_alu instid0(VALU_DEP_2) | instskip(SKIP_1) | instid1(VALU_DEP_1)
	v_fma_f32 v9, v123, v1, -v0
	v_mul_f32_e32 v0, v120, v2
	v_fma_f32 v15, v119, v3, -v0
	ds_load_2addr_stride64_b64 v[0:3], v149 offset0:36 offset1:38
	s_waitcnt lgkmcnt(0)
	v_mul_f32_e32 v16, v128, v1
	v_mul_f32_e32 v22, v82, v3
	s_delay_alu instid0(VALU_DEP_2) | instskip(SKIP_1) | instid1(VALU_DEP_3)
	v_fmac_f32_e32 v16, v127, v0
	v_mul_f32_e32 v0, v128, v0
	v_fmac_f32_e32 v22, v81, v2
	s_delay_alu instid0(VALU_DEP_2) | instskip(SKIP_1) | instid1(VALU_DEP_1)
	v_fma_f32 v17, v127, v1, -v0
	v_mul_f32_e32 v0, v82, v2
	v_fma_f32 v23, v81, v3, -v0
	;; [unrolled: 12-line block ×7, first 2 shown]
	ds_load_2addr_stride64_b64 v[0:3], v149 offset0:28 offset1:30
	s_waitcnt lgkmcnt(0)
	v_mul_f32_e32 v6, v112, v3
	v_dual_sub_f32 v58, v0, v58 :: v_dual_sub_f32 v59, v1, v59
	s_delay_alu instid0(VALU_DEP_2) | instskip(SKIP_1) | instid1(VALU_DEP_3)
	v_fmac_f32_e32 v6, v111, v2
	v_mul_f32_e32 v2, v112, v2
	v_fma_f32 v0, v0, 2.0, -v58
	s_delay_alu instid0(VALU_DEP_4) | instskip(NEXT) | instid1(VALU_DEP_3)
	v_fma_f32 v1, v1, 2.0, -v59
	v_fma_f32 v7, v111, v3, -v2
	ds_load_2addr_stride64_b64 v[2:5], v149 offset1:2
	s_waitcnt lgkmcnt(0)
	v_dual_sub_f32 v6, v2, v6 :: v_dual_sub_f32 v7, v3, v7
	v_dual_sub_f32 v8, v4, v8 :: v_dual_sub_f32 v9, v5, v9
	s_delay_alu instid0(VALU_DEP_2) | instskip(NEXT) | instid1(VALU_DEP_3)
	v_fma_f32 v10, v2, 2.0, -v6
	v_fma_f32 v11, v3, 2.0, -v7
	s_delay_alu instid0(VALU_DEP_3) | instskip(NEXT) | instid1(VALU_DEP_4)
	v_fma_f32 v12, v4, 2.0, -v8
	v_fma_f32 v13, v5, 2.0, -v9
	ds_load_2addr_stride64_b64 v[2:5], v149 offset0:4 offset1:6
	s_waitcnt lgkmcnt(0)
	v_dual_sub_f32 v14, v2, v14 :: v_dual_sub_f32 v15, v3, v15
	v_dual_sub_f32 v16, v4, v16 :: v_dual_sub_f32 v17, v5, v17
	s_delay_alu instid0(VALU_DEP_2) | instskip(NEXT) | instid1(VALU_DEP_3)
	v_fma_f32 v18, v2, 2.0, -v14
	v_fma_f32 v19, v3, 2.0, -v15
	s_delay_alu instid0(VALU_DEP_3) | instskip(NEXT) | instid1(VALU_DEP_4)
	v_fma_f32 v20, v4, 2.0, -v16
	v_fma_f32 v21, v5, 2.0, -v17
	ds_load_2addr_stride64_b64 v[2:5], v149 offset0:8 offset1:10
	;; [unrolled: 10-line block ×6, first 2 shown]
	s_waitcnt lgkmcnt(0)
	v_dual_sub_f32 v54, v2, v54 :: v_dual_sub_f32 v55, v3, v55
	v_dual_sub_f32 v56, v4, v56 :: v_dual_sub_f32 v57, v5, v57
	s_delay_alu instid0(VALU_DEP_2) | instskip(NEXT) | instid1(VALU_DEP_3)
	v_fma_f32 v2, v2, 2.0, -v54
	v_fma_f32 v3, v3, 2.0, -v55
	s_delay_alu instid0(VALU_DEP_3) | instskip(NEXT) | instid1(VALU_DEP_4)
	v_fma_f32 v4, v4, 2.0, -v56
	v_fma_f32 v5, v5, 2.0, -v57
	ds_store_2addr_stride64_b64 v149, v[10:11], v[12:13] offset1:2
	ds_store_2addr_stride64_b64 v149, v[8:9], v[14:15] offset0:32 offset1:34
	ds_store_2addr_stride64_b64 v149, v[18:19], v[20:21] offset0:4 offset1:6
	;; [unrolled: 1-line block ×14, first 2 shown]
	s_waitcnt lgkmcnt(0)
	s_barrier
	buffer_gl0_inv
	s_clause 0x3
	scratch_load_b64 v[6:7], off, off offset:240
	scratch_load_b64 v[10:11], off, off offset:232
	;; [unrolled: 1-line block ×4, first 2 shown]
	ds_load_2addr_stride64_b64 v[2:5], v149 offset1:2
	ds_load_2addr_stride64_b64 v[18:21], v149 offset0:36 offset1:38
	s_waitcnt vmcnt(3) lgkmcnt(1)
	v_mul_f32_e32 v1, v7, v3
	v_mul_f32_e32 v0, v7, v2
	s_delay_alu instid0(VALU_DEP_2) | instskip(NEXT) | instid1(VALU_DEP_2)
	v_fmac_f32_e32 v1, v6, v2
	v_fma_f32 v2, v6, v3, -v0
	scratch_load_b64 v[6:7], off, off offset:224 ; 8-byte Folded Reload
	s_waitcnt vmcnt(0)
	v_mul_f32_e32 v3, v7, v5
	v_mul_f32_e32 v0, v7, v4
	s_delay_alu instid0(VALU_DEP_2) | instskip(NEXT) | instid1(VALU_DEP_2)
	v_fmac_f32_e32 v3, v6, v4
	v_fma_f32 v5, v6, v5, -v0
	ds_load_2addr_stride64_b64 v[6:9], v149 offset0:12 offset1:14
	s_waitcnt lgkmcnt(0)
	v_mul_f32_e32 v16, v11, v7
	v_mul_f32_e32 v0, v11, v6
	scratch_load_b64 v[11:12], off, off offset:208 ; 8-byte Folded Reload
	v_fmac_f32_e32 v16, v10, v6
	v_fma_f32 v17, v10, v7, -v0
	scratch_load_b64 v[6:7], off, off offset:216 ; 8-byte Folded Reload
	s_waitcnt vmcnt(0)
	v_mul_f32_e32 v4, v7, v9
	v_mul_f32_e32 v0, v7, v8
	s_delay_alu instid0(VALU_DEP_2) | instskip(NEXT) | instid1(VALU_DEP_2)
	v_fmac_f32_e32 v4, v6, v8
	v_fma_f32 v6, v6, v9, -v0
	ds_load_2addr_stride64_b64 v[7:10], v149 offset0:24 offset1:26
	s_waitcnt lgkmcnt(0)
	v_mul_f32_e32 v13, v12, v8
	v_mul_f32_e32 v0, v12, v7
	s_delay_alu instid0(VALU_DEP_2) | instskip(NEXT) | instid1(VALU_DEP_2)
	v_fmac_f32_e32 v13, v11, v7
	v_fma_f32 v15, v11, v8, -v0
	scratch_load_b64 v[11:12], off, off offset:200 ; 8-byte Folded Reload
	v_cvt_f64_f32_e32 v[39:40], v15
	s_delay_alu instid0(VALU_DEP_1) | instskip(SKIP_3) | instid1(VALU_DEP_2)
	v_mul_f64 v[39:40], v[39:40], s[2:3]
	s_waitcnt vmcnt(0)
	v_mul_f32_e32 v7, v12, v10
	v_mul_f32_e32 v0, v12, v9
	v_fmac_f32_e32 v7, v11, v9
	scratch_load_b64 v[8:9], off, off offset:184 ; 8-byte Folded Reload
	v_fma_f32 v10, v11, v10, -v0
	scratch_load_b64 v[11:12], off, off offset:192 ; 8-byte Folded Reload
	s_waitcnt vmcnt(1)
	v_mul_f32_e32 v24, v9, v19
	v_mul_f32_e32 v0, v9, v18
	s_delay_alu instid0(VALU_DEP_2) | instskip(NEXT) | instid1(VALU_DEP_2)
	v_fmac_f32_e32 v24, v8, v18
	v_fma_f32 v25, v8, v19, -v0
	s_waitcnt vmcnt(0)
	v_mul_f32_e32 v8, v12, v21
	v_mul_f32_e32 v0, v12, v20
	s_delay_alu instid0(VALU_DEP_2) | instskip(NEXT) | instid1(VALU_DEP_2)
	v_fmac_f32_e32 v8, v11, v20
	v_fma_f32 v9, v11, v21, -v0
	scratch_load_b64 v[11:12], off, off offset:176 ; 8-byte Folded Reload
	ds_load_2addr_stride64_b64 v[18:21], v149 offset0:48 offset1:50
	s_waitcnt vmcnt(0) lgkmcnt(0)
	v_mul_f32_e32 v22, v12, v19
	v_mul_f32_e32 v0, v12, v18
	s_delay_alu instid0(VALU_DEP_2) | instskip(NEXT) | instid1(VALU_DEP_2)
	v_fmac_f32_e32 v22, v11, v18
	v_fma_f32 v23, v11, v19, -v0
	scratch_load_b64 v[18:19], off, off offset:168 ; 8-byte Folded Reload
	s_waitcnt vmcnt(0)
	v_mul_f32_e32 v12, v19, v21
	v_mul_f32_e32 v0, v19, v20
	s_delay_alu instid0(VALU_DEP_2) | instskip(NEXT) | instid1(VALU_DEP_2)
	v_fmac_f32_e32 v12, v18, v20
	v_fma_f32 v14, v18, v21, -v0
	ds_load_2addr_stride64_b64 v[18:21], v149 offset0:4 offset1:6
	s_waitcnt lgkmcnt(0)
	v_mul_f32_e32 v33, v27, v21
	v_mul_f32_e32 v0, v27, v20
	s_delay_alu instid0(VALU_DEP_2) | instskip(NEXT) | instid1(VALU_DEP_2)
	v_fmac_f32_e32 v33, v26, v20
	v_fma_f32 v35, v26, v21, -v0
	scratch_load_b64 v[20:21], off, off offset:152 ; 8-byte Folded Reload
	ds_load_2addr_stride64_b64 v[26:29], v149 offset0:8 offset1:10
	v_cvt_f64_f32_e32 v[33:34], v33
	v_cvt_f64_f32_e32 v[35:36], v35
	s_delay_alu instid0(VALU_DEP_2) | instskip(NEXT) | instid1(VALU_DEP_2)
	v_mul_f64 v[33:34], v[33:34], s[2:3]
	v_mul_f64 v[35:36], v[35:36], s[2:3]
	s_delay_alu instid0(VALU_DEP_2) | instskip(NEXT) | instid1(VALU_DEP_2)
	v_cvt_f32_f64_e32 v33, v[33:34]
	v_cvt_f32_f64_e32 v34, v[35:36]
	s_waitcnt vmcnt(0)
	v_mul_f32_e32 v11, v21, v19
	v_mul_f32_e32 v0, v21, v18
	s_delay_alu instid0(VALU_DEP_2) | instskip(NEXT) | instid1(VALU_DEP_2)
	v_fmac_f32_e32 v11, v20, v18
	v_fma_f32 v18, v20, v19, -v0
	scratch_load_b64 v[19:20], off, off offset:96 ; 8-byte Folded Reload
	s_waitcnt vmcnt(0) lgkmcnt(0)
	v_mul_f32_e32 v47, v20, v27
	v_mul_f32_e32 v0, v20, v26
	s_delay_alu instid0(VALU_DEP_2) | instskip(NEXT) | instid1(VALU_DEP_2)
	v_fmac_f32_e32 v47, v19, v26
	v_fma_f32 v48, v19, v27, -v0
	scratch_load_b64 v[26:27], off, off offset:120 ; 8-byte Folded Reload
	s_waitcnt vmcnt(0)
	v_mul_f32_e32 v20, v27, v29
	v_mul_f32_e32 v0, v27, v28
	s_delay_alu instid0(VALU_DEP_2) | instskip(NEXT) | instid1(VALU_DEP_2)
	v_fmac_f32_e32 v20, v26, v28
	v_fma_f32 v19, v26, v29, -v0
	ds_load_2addr_stride64_b64 v[26:29], v149 offset0:16 offset1:18
	s_waitcnt lgkmcnt(0)
	v_mul_f32_e32 v37, v31, v29
	v_mul_f32_e32 v0, v31, v28
	s_delay_alu instid0(VALU_DEP_2) | instskip(NEXT) | instid1(VALU_DEP_2)
	v_fmac_f32_e32 v37, v30, v28
	v_fma_f32 v38, v30, v29, -v0
	s_clause 0x1
	scratch_load_b64 v[28:29], off, off offset:144
	scratch_load_b64 v[30:31], off, off offset:56
	v_cvt_f64_f32_e32 v[35:36], v38
	s_delay_alu instid0(VALU_DEP_1) | instskip(SKIP_3) | instid1(VALU_DEP_2)
	v_mul_f64 v[35:36], v[35:36], s[2:3]
	s_waitcnt vmcnt(1)
	v_mul_f32_e32 v21, v29, v27
	v_mul_f32_e32 v0, v29, v26
	v_fmac_f32_e32 v21, v28, v26
	s_delay_alu instid0(VALU_DEP_2) | instskip(SKIP_4) | instid1(VALU_DEP_2)
	v_fma_f32 v55, v28, v27, -v0
	ds_load_2addr_stride64_b64 v[26:29], v149 offset0:20 offset1:22
	s_waitcnt vmcnt(0) lgkmcnt(0)
	v_mul_f32_e32 v49, v31, v27
	v_mul_f32_e32 v0, v31, v26
	v_fmac_f32_e32 v49, v30, v26
	s_delay_alu instid0(VALU_DEP_2)
	v_fma_f32 v50, v30, v27, -v0
	s_clause 0x1
	scratch_load_b64 v[26:27], off, off offset:64
	scratch_load_b64 v[30:31], off, off offset:88
	s_waitcnt vmcnt(1)
	v_mul_f32_e32 v56, v27, v29
	v_mul_f32_e32 v0, v27, v28
	s_delay_alu instid0(VALU_DEP_2) | instskip(NEXT) | instid1(VALU_DEP_2)
	v_fmac_f32_e32 v56, v26, v28
	v_fma_f32 v57, v26, v29, -v0
	ds_load_2addr_stride64_b64 v[26:29], v149 offset0:28 offset1:30
	s_waitcnt vmcnt(0) lgkmcnt(0)
	v_mul_f32_e32 v41, v31, v29
	v_mul_f32_e32 v0, v31, v28
	scratch_load_b64 v[31:32], off, off offset:128 ; 8-byte Folded Reload
	v_fmac_f32_e32 v41, v30, v28
	v_fma_f32 v42, v30, v29, -v0
	scratch_load_b64 v[28:29], off, off offset:112 ; 8-byte Folded Reload
	s_waitcnt vmcnt(0)
	v_mul_f32_e32 v58, v29, v27
	v_mul_f32_e32 v0, v29, v26
	s_delay_alu instid0(VALU_DEP_2) | instskip(NEXT) | instid1(VALU_DEP_2)
	v_fmac_f32_e32 v58, v28, v26
	v_fma_f32 v26, v28, v27, -v0
	ds_load_2addr_stride64_b64 v[27:30], v149 offset0:32 offset1:34
	s_waitcnt lgkmcnt(0)
	v_mul_f32_e32 v51, v32, v28
	v_mul_f32_e32 v0, v32, v27
	s_delay_alu instid0(VALU_DEP_2) | instskip(NEXT) | instid1(VALU_DEP_2)
	v_fmac_f32_e32 v51, v31, v27
	v_fma_f32 v52, v31, v28, -v0
	s_clause 0x1
	scratch_load_b64 v[27:28], off, off offset:104
	scratch_load_b64 v[31:32], off, off offset:40
	s_waitcnt vmcnt(1)
	v_mul_f32_e32 v59, v28, v30
	v_mul_f32_e32 v0, v28, v29
	s_delay_alu instid0(VALU_DEP_2) | instskip(NEXT) | instid1(VALU_DEP_2)
	v_fmac_f32_e32 v59, v27, v29
	v_fma_f32 v60, v27, v30, -v0
	ds_load_2addr_stride64_b64 v[27:30], v149 offset0:40 offset1:42
	s_waitcnt vmcnt(0) lgkmcnt(0)
	v_mul_f32_e32 v43, v32, v30
	v_mul_f32_e32 v0, v32, v29
	s_delay_alu instid0(VALU_DEP_2) | instskip(NEXT) | instid1(VALU_DEP_2)
	v_fmac_f32_e32 v43, v31, v29
	v_fma_f32 v44, v31, v30, -v0
	s_clause 0x1
	scratch_load_b64 v[29:30], off, off offset:48
	scratch_load_b64 v[31:32], off, off offset:72
	s_waitcnt vmcnt(1)
	v_mul_f32_e32 v61, v30, v28
	v_mul_f32_e32 v0, v30, v27
	s_delay_alu instid0(VALU_DEP_2) | instskip(NEXT) | instid1(VALU_DEP_2)
	v_fmac_f32_e32 v61, v29, v27
	v_fma_f32 v62, v29, v28, -v0
	ds_load_2addr_stride64_b64 v[27:30], v149 offset0:44 offset1:46
	s_waitcnt vmcnt(0) lgkmcnt(0)
	v_mul_f32_e32 v53, v32, v28
	v_mul_f32_e32 v0, v32, v27
	s_delay_alu instid0(VALU_DEP_2) | instskip(NEXT) | instid1(VALU_DEP_2)
	v_fmac_f32_e32 v53, v31, v27
	v_fma_f32 v54, v31, v28, -v0
	s_clause 0x1
	scratch_load_b64 v[27:28], off, off offset:80
	scratch_load_b64 v[31:32], off, off offset:8
	s_waitcnt vmcnt(1)
	v_mul_f32_e32 v63, v28, v30
	v_mul_f32_e32 v0, v28, v29
	s_delay_alu instid0(VALU_DEP_2) | instskip(NEXT) | instid1(VALU_DEP_2)
	v_fmac_f32_e32 v63, v27, v29
	v_fma_f32 v64, v27, v30, -v0
	ds_load_2addr_stride64_b64 v[27:30], v149 offset0:52 offset1:54
	s_waitcnt vmcnt(0) lgkmcnt(0)
	v_mul_f32_e32 v45, v32, v30
	v_mul_f32_e32 v0, v32, v29
	s_delay_alu instid0(VALU_DEP_2) | instskip(NEXT) | instid1(VALU_DEP_2)
	v_fmac_f32_e32 v45, v31, v29
	v_fma_f32 v46, v31, v30, -v0
	s_clause 0x1
	scratch_load_b64 v[29:30], off, off offset:16
	scratch_load_b64 v[31:32], off, off offset:24
	s_waitcnt vmcnt(1)
	v_mul_f32_e32 v65, v30, v28
	v_mul_f32_e32 v0, v30, v27
	s_delay_alu instid0(VALU_DEP_2) | instskip(NEXT) | instid1(VALU_DEP_2)
	v_fmac_f32_e32 v65, v29, v27
	v_fma_f32 v66, v29, v28, -v0
	ds_load_2addr_stride64_b64 v[27:30], v149 offset0:56 offset1:58
	s_waitcnt vmcnt(0) lgkmcnt(0)
	v_mul_f32_e32 v67, v32, v28
	v_mul_f32_e32 v0, v32, v27
	s_delay_alu instid0(VALU_DEP_2) | instskip(NEXT) | instid1(VALU_DEP_2)
	v_fmac_f32_e32 v67, v31, v27
	v_fma_f32 v68, v31, v28, -v0
	scratch_load_b64 v[27:28], off, off offset:32 ; 8-byte Folded Reload
	s_waitcnt vmcnt(0)
	v_mul_f32_e32 v0, v28, v29
	v_mul_f32_e32 v69, v28, v30
	s_delay_alu instid0(VALU_DEP_2) | instskip(SKIP_4) | instid1(VALU_DEP_1)
	v_fma_f32 v70, v27, v30, -v0
	scratch_load_b64 v[30:31], off, off     ; 8-byte Folded Reload
	v_fmac_f32_e32 v69, v27, v29
	s_waitcnt vmcnt(0)
	v_mad_u64_u32 v[27:28], null, s6, v30, 0
	v_mov_b32_e32 v0, v28
	s_delay_alu instid0(VALU_DEP_1) | instskip(SKIP_1) | instid1(VALU_DEP_2)
	v_mad_u64_u32 v[28:29], null, s7, v30, v[0:1]
	v_mad_u64_u32 v[29:30], null, s4, v198, 0
	v_lshlrev_b64 v[27:28], 3, v[27:28]
	s_delay_alu instid0(VALU_DEP_2) | instskip(NEXT) | instid1(VALU_DEP_1)
	v_mov_b32_e32 v0, v30
	v_mad_u64_u32 v[30:31], null, s5, v198, v[0:1]
	v_cvt_f64_f32_e32 v[0:1], v1
	v_cvt_f64_f32_e32 v[31:32], v2
	v_add_co_u32 v2, vcc_lo, s0, v27
	v_add_co_ci_u32_e32 v28, vcc_lo, s1, v28, vcc_lo
	v_lshlrev_b64 v[29:30], 3, v[29:30]
	s_mul_i32 s0, s5, 0xc00
	s_mul_hi_u32 s1, s4, 0xc00
	s_mulk_i32 s5, 0x9800
	s_add_i32 s0, s1, s0
	s_mul_i32 s1, s4, 0xc00
	v_add_co_u32 v27, vcc_lo, v2, v29
	v_add_co_ci_u32_e32 v28, vcc_lo, v28, v30, vcc_lo
	v_cvt_f64_f32_e32 v[29:30], v37
	v_cvt_f64_f32_e32 v[37:38], v13
	;; [unrolled: 1-line block ×4, first 2 shown]
	s_sub_i32 s5, s5, s4
	v_mul_f64 v[0:1], v[0:1], s[2:3]
	v_mul_f64 v[31:32], v[31:32], s[2:3]
	;; [unrolled: 1-line block ×6, first 2 shown]
	v_cvt_f32_f64_e32 v0, v[0:1]
	v_cvt_f32_f64_e32 v1, v[31:32]
	v_cvt_f64_f32_e32 v[31:32], v16
	v_cvt_f64_f32_e32 v[16:17], v17
	v_cvt_f32_f64_e32 v29, v[29:30]
	v_cvt_f32_f64_e32 v30, v[35:36]
	v_cvt_f64_f32_e32 v[35:36], v22
	v_cvt_f64_f32_e32 v[22:23], v23
	v_cvt_f32_f64_e32 v2, v[2:3]
	v_cvt_f32_f64_e32 v12, v[12:13]
	global_store_b64 v[27:28], v[0:1], off
	v_mul_f64 v[31:32], v[31:32], s[2:3]
	v_mul_f64 v[16:17], v[16:17], s[2:3]
	v_add_co_u32 v0, vcc_lo, v27, s1
	v_add_co_ci_u32_e32 v1, vcc_lo, s0, v28, vcc_lo
	v_cvt_f64_f32_e32 v[27:28], v41
	global_store_b64 v[0:1], v[33:34], off
	v_cvt_f64_f32_e32 v[33:34], v43
	v_cvt_f64_f32_e32 v[43:44], v44
	v_add_co_u32 v0, vcc_lo, v0, s1
	v_add_co_ci_u32_e32 v1, vcc_lo, s0, v1, vcc_lo
	v_mul_f64 v[35:36], v[35:36], s[2:3]
	v_mul_f64 v[22:23], v[22:23], s[2:3]
	v_cvt_f32_f64_e32 v15, v[31:32]
	v_cvt_f64_f32_e32 v[31:32], v42
	v_cvt_f64_f32_e32 v[41:42], v24
	;; [unrolled: 1-line block ×3, first 2 shown]
	v_cvt_f32_f64_e32 v16, v[16:17]
	v_mul_f64 v[27:28], v[27:28], s[2:3]
	v_mul_f64 v[33:34], v[33:34], s[2:3]
	v_mul_f64 v[43:44], v[43:44], s[2:3]
	v_mul_f64 v[31:32], v[31:32], s[2:3]
	v_mul_f64 v[41:42], v[41:42], s[2:3]
	v_mul_f64 v[24:25], v[24:25], s[2:3]
	global_store_b64 v[0:1], v[15:16], off
	v_cvt_f32_f64_e32 v15, v[37:38]
	v_cvt_f32_f64_e32 v16, v[39:40]
	v_cvt_f64_f32_e32 v[37:38], v45
	v_cvt_f64_f32_e32 v[39:40], v46
	;; [unrolled: 1-line block ×3, first 2 shown]
	v_cvt_f32_f64_e32 v27, v[27:28]
	v_cvt_f64_f32_e32 v[4:5], v4
	v_cvt_f32_f64_e32 v33, v[33:34]
	v_cvt_f32_f64_e32 v34, v[43:44]
	v_cvt_f64_f32_e32 v[43:44], v49
	v_cvt_f64_f32_e32 v[49:50], v50
	v_add_co_u32 v0, vcc_lo, v0, s1
	v_add_co_ci_u32_e32 v1, vcc_lo, s0, v1, vcc_lo
	global_store_b64 v[0:1], v[29:30], off
	v_add_co_u32 v0, vcc_lo, v0, s1
	v_add_co_ci_u32_e32 v1, vcc_lo, s0, v1, vcc_lo
	v_cvt_f32_f64_e32 v28, v[31:32]
	v_cvt_f32_f64_e32 v31, v[41:42]
	;; [unrolled: 1-line block ×3, first 2 shown]
	v_cvt_f64_f32_e32 v[24:25], v47
	v_cvt_f64_f32_e32 v[41:42], v48
	;; [unrolled: 1-line block ×3, first 2 shown]
	v_mul_f64 v[37:38], v[37:38], s[2:3]
	v_mul_f64 v[39:40], v[39:40], s[2:3]
	;; [unrolled: 1-line block ×3, first 2 shown]
	global_store_b64 v[0:1], v[15:16], off
	v_mul_f64 v[4:5], v[4:5], s[2:3]
	v_cvt_f64_f32_e32 v[6:7], v7
	v_add_co_u32 v0, vcc_lo, v0, s1
	v_mul_f64 v[15:16], v[43:44], s[2:3]
	v_mul_f64 v[43:44], v[49:50], s[2:3]
	v_add_co_ci_u32_e32 v1, vcc_lo, s0, v1, vcc_lo
	s_delay_alu instid0(VALU_DEP_4) | instskip(NEXT) | instid1(VALU_DEP_2)
	v_add_co_u32 v49, vcc_lo, v0, s1
	v_add_co_ci_u32_e32 v50, vcc_lo, s0, v1, vcc_lo
	global_store_b64 v[0:1], v[27:28], off
	v_cvt_f32_f64_e32 v27, v[35:36]
	v_cvt_f32_f64_e32 v28, v[22:23]
	v_mul_f64 v[24:25], v[24:25], s[2:3]
	v_mul_f64 v[29:30], v[41:42], s[2:3]
	;; [unrolled: 1-line block ×3, first 2 shown]
	v_cvt_f64_f32_e32 v[47:48], v10
	v_cvt_f32_f64_e32 v22, v[37:38]
	v_cvt_f32_f64_e32 v23, v[39:40]
	;; [unrolled: 1-line block ×3, first 2 shown]
	v_cvt_f64_f32_e32 v[35:36], v51
	v_cvt_f64_f32_e32 v[37:38], v52
	v_cvt_f64_f32_e32 v[39:40], v8
	v_cvt_f64_f32_e32 v[8:9], v9
	v_cvt_f64_f32_e32 v[45:46], v53
	v_cvt_f64_f32_e32 v[51:52], v54
	v_add_co_u32 v0, vcc_lo, v49, s1
	v_add_co_ci_u32_e32 v1, vcc_lo, s0, v50, vcc_lo
	v_cvt_f32_f64_e32 v4, v[4:5]
	s_delay_alu instid0(VALU_DEP_3) | instskip(NEXT) | instid1(VALU_DEP_3)
	v_add_co_u32 v53, vcc_lo, v0, s1
	v_add_co_ci_u32_e32 v54, vcc_lo, s0, v1, vcc_lo
	v_mul_f64 v[6:7], v[6:7], s[2:3]
	global_store_b64 v[49:50], v[31:32], off
	global_store_b64 v[0:1], v[33:34], off
	v_cvt_f64_f32_e32 v[10:11], v11
	v_cvt_f64_f32_e32 v[49:50], v64
	global_store_b64 v[53:54], v[27:28], off
	v_cvt_f32_f64_e32 v24, v[24:25]
	v_cvt_f32_f64_e32 v25, v[29:30]
	v_cvt_f64_f32_e32 v[29:30], v14
	v_cvt_f32_f64_e32 v5, v[41:42]
	v_cvt_f32_f64_e32 v14, v[15:16]
	;; [unrolled: 1-line block ×3, first 2 shown]
	v_add_co_u32 v41, vcc_lo, v53, s1
	v_add_co_ci_u32_e32 v42, vcc_lo, s0, v54, vcc_lo
	v_mul_f64 v[16:17], v[47:48], s[2:3]
	v_mul_f64 v[27:28], v[35:36], s[2:3]
	;; [unrolled: 1-line block ×3, first 2 shown]
	s_delay_alu instid0(VALU_DEP_4)
	v_mad_u64_u32 v[43:44], null, 0xffff9800, s4, v[41:42]
	v_mul_f64 v[33:34], v[39:40], s[2:3]
	v_mul_f64 v[8:9], v[8:9], s[2:3]
	;; [unrolled: 1-line block ×4, first 2 shown]
	global_store_b64 v[41:42], v[22:23], off
	v_cvt_f64_f32_e32 v[41:42], v58
	v_add_nc_u32_e32 v44, s5, v44
	v_add_co_u32 v0, vcc_lo, v43, s1
	v_cvt_f64_f32_e32 v[45:46], v62
	v_cvt_f64_f32_e32 v[51:52], v65
	s_delay_alu instid0(VALU_DEP_4) | instskip(NEXT) | instid1(VALU_DEP_4)
	v_add_co_ci_u32_e32 v1, vcc_lo, s0, v44, vcc_lo
	v_add_co_u32 v39, vcc_lo, v0, s1
	v_cvt_f64_f32_e32 v[53:54], v66
	s_delay_alu instid0(VALU_DEP_3) | instskip(NEXT) | instid1(VALU_DEP_3)
	v_add_co_ci_u32_e32 v40, vcc_lo, s0, v1, vcc_lo
	v_add_co_u32 v22, vcc_lo, v39, s1
	v_mul_f64 v[10:11], v[10:11], s[2:3]
	s_delay_alu instid0(VALU_DEP_3)
	v_add_co_ci_u32_e32 v23, vcc_lo, s0, v40, vcc_lo
	global_store_b64 v[43:44], v[2:3], off
	global_store_b64 v[0:1], v[24:25], off
	;; [unrolled: 1-line block ×4, first 2 shown]
	v_mul_f64 v[29:30], v[29:30], s[2:3]
	v_cvt_f64_f32_e32 v[2:3], v67
	v_cvt_f64_f32_e32 v[4:5], v68
	;; [unrolled: 1-line block ×3, first 2 shown]
	v_cvt_f32_f64_e32 v0, v[6:7]
	v_add_co_u32 v6, vcc_lo, v22, s1
	v_cvt_f32_f64_e32 v1, v[16:17]
	v_add_co_ci_u32_e32 v7, vcc_lo, s0, v23, vcc_lo
	v_cvt_f64_f32_e32 v[16:17], v20
	v_cvt_f64_f32_e32 v[18:19], v19
	;; [unrolled: 1-line block ×7, first 2 shown]
	v_cvt_f32_f64_e32 v26, v[27:28]
	v_cvt_f32_f64_e32 v27, v[31:32]
	;; [unrolled: 1-line block ×4, first 2 shown]
	v_cvt_f64_f32_e32 v[8:9], v59
	v_cvt_f64_f32_e32 v[33:34], v60
	v_cvt_f32_f64_e32 v35, v[35:36]
	v_cvt_f32_f64_e32 v36, v[37:38]
	v_cvt_f64_f32_e32 v[37:38], v61
	v_cvt_f64_f32_e32 v[55:56], v69
	;; [unrolled: 1-line block ×3, first 2 shown]
	v_add_co_u32 v47, vcc_lo, v6, s1
	v_add_co_ci_u32_e32 v48, vcc_lo, s0, v7, vcc_lo
	v_mul_f64 v[41:42], v[41:42], s[2:3]
	s_delay_alu instid0(VALU_DEP_3) | instskip(NEXT) | instid1(VALU_DEP_3)
	v_add_co_u32 v59, vcc_lo, v47, s1
	v_add_co_ci_u32_e32 v60, vcc_lo, s0, v48, vcc_lo
	v_cvt_f32_f64_e32 v10, v[10:11]
	v_cvt_f32_f64_e32 v13, v[29:30]
	v_cvt_f64_f32_e32 v[28:29], v63
	v_mul_f64 v[2:3], v[2:3], s[2:3]
	v_mul_f64 v[4:5], v[4:5], s[2:3]
	;; [unrolled: 1-line block ×3, first 2 shown]
	v_add_co_u32 v61, vcc_lo, v59, s1
	v_add_co_ci_u32_e32 v62, vcc_lo, s0, v60, vcc_lo
	global_store_b64 v[6:7], v[0:1], off
	global_store_b64 v[47:48], v[26:27], off
	;; [unrolled: 1-line block ×4, first 2 shown]
	v_mul_f64 v[16:17], v[16:17], s[2:3]
	v_mul_f64 v[18:19], v[18:19], s[2:3]
	;; [unrolled: 1-line block ×16, first 2 shown]
	v_add_co_u32 v26, vcc_lo, v61, s1
	v_mul_f64 v[28:29], v[28:29], s[2:3]
	v_cvt_f32_f64_e32 v2, v[2:3]
	v_cvt_f32_f64_e32 v3, v[4:5]
	v_add_co_ci_u32_e32 v27, vcc_lo, s0, v62, vcc_lo
	v_add_co_u32 v4, vcc_lo, v26, s1
	v_cvt_f32_f64_e32 v11, v[14:15]
	s_delay_alu instid0(VALU_DEP_3)
	v_add_co_ci_u32_e32 v5, vcc_lo, s0, v27, vcc_lo
	global_store_b64 v[26:27], v[12:13], off
	v_mad_u64_u32 v[14:15], null, 0xffff9800, s4, v[4:5]
	v_cvt_f32_f64_e32 v12, v[16:17]
	v_cvt_f32_f64_e32 v13, v[18:19]
	;; [unrolled: 1-line block ×4, first 2 shown]
	v_add_nc_u32_e32 v15, s5, v15
	v_add_co_u32 v22, vcc_lo, v14, s1
	v_cvt_f32_f64_e32 v18, v[24:25]
	v_cvt_f32_f64_e32 v19, v[39:40]
	v_cvt_f32_f64_e32 v20, v[41:42]
	v_cvt_f32_f64_e32 v21, v[43:44]
	v_add_co_ci_u32_e32 v23, vcc_lo, s0, v15, vcc_lo
	v_cvt_f32_f64_e32 v8, v[8:9]
	v_cvt_f32_f64_e32 v9, v[33:34]
	;; [unrolled: 1-line block ×4, first 2 shown]
	v_add_co_u32 v6, vcc_lo, v22, s1
	v_add_co_ci_u32_e32 v7, vcc_lo, s0, v23, vcc_lo
	v_cvt_f32_f64_e32 v24, v[28:29]
	v_cvt_f32_f64_e32 v25, v[30:31]
	;; [unrolled: 1-line block ×6, first 2 shown]
	v_add_co_u32 v30, vcc_lo, v6, s1
	v_add_co_ci_u32_e32 v31, vcc_lo, s0, v7, vcc_lo
	global_store_b64 v[4:5], v[2:3], off
	v_add_co_u32 v2, vcc_lo, v30, s1
	v_add_co_ci_u32_e32 v3, vcc_lo, s0, v31, vcc_lo
	global_store_b64 v[14:15], v[10:11], off
	;; [unrolled: 3-line block ×7, first 2 shown]
	global_store_b64 v[10:11], v[0:1], off
	global_store_b64 v[6:7], v[24:25], off
	;; [unrolled: 1-line block ×4, first 2 shown]
.LBB0_2:
	s_nop 0
	s_sendmsg sendmsg(MSG_DEALLOC_VGPRS)
	s_endpgm
	.section	.rodata,"a",@progbits
	.p2align	6, 0x0
	.amdhsa_kernel bluestein_single_back_len3840_dim1_sp_op_CI_CI
		.amdhsa_group_segment_fixed_size 30720
		.amdhsa_private_segment_fixed_size 768
		.amdhsa_kernarg_size 104
		.amdhsa_user_sgpr_count 15
		.amdhsa_user_sgpr_dispatch_ptr 0
		.amdhsa_user_sgpr_queue_ptr 0
		.amdhsa_user_sgpr_kernarg_segment_ptr 1
		.amdhsa_user_sgpr_dispatch_id 0
		.amdhsa_user_sgpr_private_segment_size 0
		.amdhsa_wavefront_size32 1
		.amdhsa_uses_dynamic_stack 0
		.amdhsa_enable_private_segment 1
		.amdhsa_system_sgpr_workgroup_id_x 1
		.amdhsa_system_sgpr_workgroup_id_y 0
		.amdhsa_system_sgpr_workgroup_id_z 0
		.amdhsa_system_sgpr_workgroup_info 0
		.amdhsa_system_vgpr_workitem_id 0
		.amdhsa_next_free_vgpr 256
		.amdhsa_next_free_sgpr 20
		.amdhsa_reserve_vcc 1
		.amdhsa_float_round_mode_32 0
		.amdhsa_float_round_mode_16_64 0
		.amdhsa_float_denorm_mode_32 3
		.amdhsa_float_denorm_mode_16_64 3
		.amdhsa_dx10_clamp 1
		.amdhsa_ieee_mode 1
		.amdhsa_fp16_overflow 0
		.amdhsa_workgroup_processor_mode 1
		.amdhsa_memory_ordered 1
		.amdhsa_forward_progress 0
		.amdhsa_shared_vgpr_count 0
		.amdhsa_exception_fp_ieee_invalid_op 0
		.amdhsa_exception_fp_denorm_src 0
		.amdhsa_exception_fp_ieee_div_zero 0
		.amdhsa_exception_fp_ieee_overflow 0
		.amdhsa_exception_fp_ieee_underflow 0
		.amdhsa_exception_fp_ieee_inexact 0
		.amdhsa_exception_int_div_zero 0
	.end_amdhsa_kernel
	.text
.Lfunc_end0:
	.size	bluestein_single_back_len3840_dim1_sp_op_CI_CI, .Lfunc_end0-bluestein_single_back_len3840_dim1_sp_op_CI_CI
                                        ; -- End function
	.section	.AMDGPU.csdata,"",@progbits
; Kernel info:
; codeLenInByte = 38444
; NumSgprs: 22
; NumVgprs: 256
; ScratchSize: 768
; MemoryBound: 0
; FloatMode: 240
; IeeeMode: 1
; LDSByteSize: 30720 bytes/workgroup (compile time only)
; SGPRBlocks: 2
; VGPRBlocks: 31
; NumSGPRsForWavesPerEU: 22
; NumVGPRsForWavesPerEU: 256
; Occupancy: 4
; WaveLimiterHint : 1
; COMPUTE_PGM_RSRC2:SCRATCH_EN: 1
; COMPUTE_PGM_RSRC2:USER_SGPR: 15
; COMPUTE_PGM_RSRC2:TRAP_HANDLER: 0
; COMPUTE_PGM_RSRC2:TGID_X_EN: 1
; COMPUTE_PGM_RSRC2:TGID_Y_EN: 0
; COMPUTE_PGM_RSRC2:TGID_Z_EN: 0
; COMPUTE_PGM_RSRC2:TIDIG_COMP_CNT: 0
	.text
	.p2alignl 7, 3214868480
	.fill 96, 4, 3214868480
	.type	__hip_cuid_44b346d80c77c4e7,@object ; @__hip_cuid_44b346d80c77c4e7
	.section	.bss,"aw",@nobits
	.globl	__hip_cuid_44b346d80c77c4e7
__hip_cuid_44b346d80c77c4e7:
	.byte	0                               ; 0x0
	.size	__hip_cuid_44b346d80c77c4e7, 1

	.ident	"AMD clang version 19.0.0git (https://github.com/RadeonOpenCompute/llvm-project roc-6.4.0 25133 c7fe45cf4b819c5991fe208aaa96edf142730f1d)"
	.section	".note.GNU-stack","",@progbits
	.addrsig
	.addrsig_sym __hip_cuid_44b346d80c77c4e7
	.amdgpu_metadata
---
amdhsa.kernels:
  - .args:
      - .actual_access:  read_only
        .address_space:  global
        .offset:         0
        .size:           8
        .value_kind:     global_buffer
      - .actual_access:  read_only
        .address_space:  global
        .offset:         8
        .size:           8
        .value_kind:     global_buffer
      - .actual_access:  read_only
        .address_space:  global
        .offset:         16
        .size:           8
        .value_kind:     global_buffer
      - .actual_access:  read_only
        .address_space:  global
        .offset:         24
        .size:           8
        .value_kind:     global_buffer
      - .actual_access:  read_only
        .address_space:  global
        .offset:         32
        .size:           8
        .value_kind:     global_buffer
      - .offset:         40
        .size:           8
        .value_kind:     by_value
      - .address_space:  global
        .offset:         48
        .size:           8
        .value_kind:     global_buffer
      - .address_space:  global
        .offset:         56
        .size:           8
        .value_kind:     global_buffer
      - .address_space:  global
        .offset:         64
        .size:           8
        .value_kind:     global_buffer
      - .address_space:  global
        .offset:         72
        .size:           8
        .value_kind:     global_buffer
      - .offset:         80
        .size:           4
        .value_kind:     by_value
      - .address_space:  global
        .offset:         88
        .size:           8
        .value_kind:     global_buffer
      - .address_space:  global
        .offset:         96
        .size:           8
        .value_kind:     global_buffer
    .group_segment_fixed_size: 30720
    .kernarg_segment_align: 8
    .kernarg_segment_size: 104
    .language:       OpenCL C
    .language_version:
      - 2
      - 0
    .max_flat_workgroup_size: 128
    .name:           bluestein_single_back_len3840_dim1_sp_op_CI_CI
    .private_segment_fixed_size: 768
    .sgpr_count:     22
    .sgpr_spill_count: 0
    .symbol:         bluestein_single_back_len3840_dim1_sp_op_CI_CI.kd
    .uniform_work_group_size: 1
    .uses_dynamic_stack: false
    .vgpr_count:     256
    .vgpr_spill_count: 191
    .wavefront_size: 32
    .workgroup_processor_mode: 1
amdhsa.target:   amdgcn-amd-amdhsa--gfx1100
amdhsa.version:
  - 1
  - 2
...

	.end_amdgpu_metadata
